;; amdgpu-corpus repo=ROCm/rocFFT kind=compiled arch=gfx1030 opt=O3
	.text
	.amdgcn_target "amdgcn-amd-amdhsa--gfx1030"
	.amdhsa_code_object_version 6
	.protected	fft_rtc_fwd_len1690_factors_13_10_13_wgs_169_tpt_169_dp_op_CI_CI_unitstride_sbrr_R2C_dirReg ; -- Begin function fft_rtc_fwd_len1690_factors_13_10_13_wgs_169_tpt_169_dp_op_CI_CI_unitstride_sbrr_R2C_dirReg
	.globl	fft_rtc_fwd_len1690_factors_13_10_13_wgs_169_tpt_169_dp_op_CI_CI_unitstride_sbrr_R2C_dirReg
	.p2align	8
	.type	fft_rtc_fwd_len1690_factors_13_10_13_wgs_169_tpt_169_dp_op_CI_CI_unitstride_sbrr_R2C_dirReg,@function
fft_rtc_fwd_len1690_factors_13_10_13_wgs_169_tpt_169_dp_op_CI_CI_unitstride_sbrr_R2C_dirReg: ; @fft_rtc_fwd_len1690_factors_13_10_13_wgs_169_tpt_169_dp_op_CI_CI_unitstride_sbrr_R2C_dirReg
; %bb.0:
	s_clause 0x2
	s_load_dwordx4 s[12:15], s[4:5], 0x0
	s_load_dwordx4 s[8:11], s[4:5], 0x58
	;; [unrolled: 1-line block ×3, first 2 shown]
	v_mul_u32_u24_e32 v1, 0x184, v0
	v_mov_b32_e32 v3, 0
	v_add_nc_u32_sdwa v5, s6, v1 dst_sel:DWORD dst_unused:UNUSED_PAD src0_sel:DWORD src1_sel:WORD_1
	v_mov_b32_e32 v1, 0
	v_mov_b32_e32 v6, v3
	v_mov_b32_e32 v2, 0
	s_waitcnt lgkmcnt(0)
	v_cmp_lt_u64_e64 s0, s[14:15], 2
	s_and_b32 vcc_lo, exec_lo, s0
	s_cbranch_vccnz .LBB0_8
; %bb.1:
	s_load_dwordx2 s[0:1], s[4:5], 0x10
	v_mov_b32_e32 v1, 0
	v_mov_b32_e32 v2, 0
	s_add_u32 s2, s18, 8
	s_addc_u32 s3, s19, 0
	s_add_u32 s6, s16, 8
	s_addc_u32 s7, s17, 0
	v_mov_b32_e32 v65, v2
	v_mov_b32_e32 v64, v1
	s_mov_b64 s[22:23], 1
	s_waitcnt lgkmcnt(0)
	s_add_u32 s20, s0, 8
	s_addc_u32 s21, s1, 0
.LBB0_2:                                ; =>This Inner Loop Header: Depth=1
	s_load_dwordx2 s[24:25], s[20:21], 0x0
                                        ; implicit-def: $vgpr68_vgpr69
	s_mov_b32 s0, exec_lo
	s_waitcnt lgkmcnt(0)
	v_or_b32_e32 v4, s25, v6
	v_cmpx_ne_u64_e32 0, v[3:4]
	s_xor_b32 s1, exec_lo, s0
	s_cbranch_execz .LBB0_4
; %bb.3:                                ;   in Loop: Header=BB0_2 Depth=1
	v_cvt_f32_u32_e32 v4, s24
	v_cvt_f32_u32_e32 v7, s25
	s_sub_u32 s0, 0, s24
	s_subb_u32 s26, 0, s25
	v_fmac_f32_e32 v4, 0x4f800000, v7
	v_rcp_f32_e32 v4, v4
	v_mul_f32_e32 v4, 0x5f7ffffc, v4
	v_mul_f32_e32 v7, 0x2f800000, v4
	v_trunc_f32_e32 v7, v7
	v_fmac_f32_e32 v4, 0xcf800000, v7
	v_cvt_u32_f32_e32 v7, v7
	v_cvt_u32_f32_e32 v4, v4
	v_mul_lo_u32 v8, s0, v7
	v_mul_hi_u32 v9, s0, v4
	v_mul_lo_u32 v10, s26, v4
	v_add_nc_u32_e32 v8, v9, v8
	v_mul_lo_u32 v9, s0, v4
	v_add_nc_u32_e32 v8, v8, v10
	v_mul_hi_u32 v10, v4, v9
	v_mul_lo_u32 v11, v4, v8
	v_mul_hi_u32 v12, v4, v8
	v_mul_hi_u32 v13, v7, v9
	v_mul_lo_u32 v9, v7, v9
	v_mul_hi_u32 v14, v7, v8
	v_mul_lo_u32 v8, v7, v8
	v_add_co_u32 v10, vcc_lo, v10, v11
	v_add_co_ci_u32_e32 v11, vcc_lo, 0, v12, vcc_lo
	v_add_co_u32 v9, vcc_lo, v10, v9
	v_add_co_ci_u32_e32 v9, vcc_lo, v11, v13, vcc_lo
	v_add_co_ci_u32_e32 v10, vcc_lo, 0, v14, vcc_lo
	v_add_co_u32 v8, vcc_lo, v9, v8
	v_add_co_ci_u32_e32 v9, vcc_lo, 0, v10, vcc_lo
	v_add_co_u32 v4, vcc_lo, v4, v8
	v_add_co_ci_u32_e32 v7, vcc_lo, v7, v9, vcc_lo
	v_mul_hi_u32 v8, s0, v4
	v_mul_lo_u32 v10, s26, v4
	v_mul_lo_u32 v9, s0, v7
	v_add_nc_u32_e32 v8, v8, v9
	v_mul_lo_u32 v9, s0, v4
	v_add_nc_u32_e32 v8, v8, v10
	v_mul_hi_u32 v10, v4, v9
	v_mul_lo_u32 v11, v4, v8
	v_mul_hi_u32 v12, v4, v8
	v_mul_hi_u32 v13, v7, v9
	v_mul_lo_u32 v9, v7, v9
	v_mul_hi_u32 v14, v7, v8
	v_mul_lo_u32 v8, v7, v8
	v_add_co_u32 v10, vcc_lo, v10, v11
	v_add_co_ci_u32_e32 v11, vcc_lo, 0, v12, vcc_lo
	v_add_co_u32 v9, vcc_lo, v10, v9
	v_add_co_ci_u32_e32 v9, vcc_lo, v11, v13, vcc_lo
	v_add_co_ci_u32_e32 v10, vcc_lo, 0, v14, vcc_lo
	v_add_co_u32 v8, vcc_lo, v9, v8
	v_add_co_ci_u32_e32 v9, vcc_lo, 0, v10, vcc_lo
	v_add_co_u32 v4, vcc_lo, v4, v8
	v_add_co_ci_u32_e32 v11, vcc_lo, v7, v9, vcc_lo
	v_mul_hi_u32 v13, v5, v4
	v_mad_u64_u32 v[9:10], null, v6, v4, 0
	v_mad_u64_u32 v[7:8], null, v5, v11, 0
	;; [unrolled: 1-line block ×3, first 2 shown]
	v_add_co_u32 v4, vcc_lo, v13, v7
	v_add_co_ci_u32_e32 v7, vcc_lo, 0, v8, vcc_lo
	v_add_co_u32 v4, vcc_lo, v4, v9
	v_add_co_ci_u32_e32 v4, vcc_lo, v7, v10, vcc_lo
	v_add_co_ci_u32_e32 v7, vcc_lo, 0, v12, vcc_lo
	v_add_co_u32 v4, vcc_lo, v4, v11
	v_add_co_ci_u32_e32 v9, vcc_lo, 0, v7, vcc_lo
	v_mul_lo_u32 v10, s25, v4
	v_mad_u64_u32 v[7:8], null, s24, v4, 0
	v_mul_lo_u32 v11, s24, v9
	v_sub_co_u32 v7, vcc_lo, v5, v7
	v_add3_u32 v8, v8, v11, v10
	v_sub_nc_u32_e32 v10, v6, v8
	v_subrev_co_ci_u32_e64 v10, s0, s25, v10, vcc_lo
	v_add_co_u32 v11, s0, v4, 2
	v_add_co_ci_u32_e64 v12, s0, 0, v9, s0
	v_sub_co_u32 v13, s0, v7, s24
	v_sub_co_ci_u32_e32 v8, vcc_lo, v6, v8, vcc_lo
	v_subrev_co_ci_u32_e64 v10, s0, 0, v10, s0
	v_cmp_le_u32_e32 vcc_lo, s24, v13
	v_cmp_eq_u32_e64 s0, s25, v8
	v_cndmask_b32_e64 v13, 0, -1, vcc_lo
	v_cmp_le_u32_e32 vcc_lo, s25, v10
	v_cndmask_b32_e64 v14, 0, -1, vcc_lo
	v_cmp_le_u32_e32 vcc_lo, s24, v7
	;; [unrolled: 2-line block ×3, first 2 shown]
	v_cndmask_b32_e64 v15, 0, -1, vcc_lo
	v_cmp_eq_u32_e32 vcc_lo, s25, v10
	v_cndmask_b32_e64 v7, v15, v7, s0
	v_cndmask_b32_e32 v10, v14, v13, vcc_lo
	v_add_co_u32 v13, vcc_lo, v4, 1
	v_add_co_ci_u32_e32 v14, vcc_lo, 0, v9, vcc_lo
	v_cmp_ne_u32_e32 vcc_lo, 0, v10
	v_cndmask_b32_e32 v8, v14, v12, vcc_lo
	v_cndmask_b32_e32 v10, v13, v11, vcc_lo
	v_cmp_ne_u32_e32 vcc_lo, 0, v7
	v_cndmask_b32_e32 v69, v9, v8, vcc_lo
	v_cndmask_b32_e32 v68, v4, v10, vcc_lo
.LBB0_4:                                ;   in Loop: Header=BB0_2 Depth=1
	s_andn2_saveexec_b32 s0, s1
	s_cbranch_execz .LBB0_6
; %bb.5:                                ;   in Loop: Header=BB0_2 Depth=1
	v_cvt_f32_u32_e32 v4, s24
	s_sub_i32 s1, 0, s24
	v_mov_b32_e32 v69, v3
	v_rcp_iflag_f32_e32 v4, v4
	v_mul_f32_e32 v4, 0x4f7ffffe, v4
	v_cvt_u32_f32_e32 v4, v4
	v_mul_lo_u32 v7, s1, v4
	v_mul_hi_u32 v7, v4, v7
	v_add_nc_u32_e32 v4, v4, v7
	v_mul_hi_u32 v4, v5, v4
	v_mul_lo_u32 v7, v4, s24
	v_add_nc_u32_e32 v8, 1, v4
	v_sub_nc_u32_e32 v7, v5, v7
	v_subrev_nc_u32_e32 v9, s24, v7
	v_cmp_le_u32_e32 vcc_lo, s24, v7
	v_cndmask_b32_e32 v7, v7, v9, vcc_lo
	v_cndmask_b32_e32 v4, v4, v8, vcc_lo
	v_cmp_le_u32_e32 vcc_lo, s24, v7
	v_add_nc_u32_e32 v8, 1, v4
	v_cndmask_b32_e32 v68, v4, v8, vcc_lo
.LBB0_6:                                ;   in Loop: Header=BB0_2 Depth=1
	s_or_b32 exec_lo, exec_lo, s0
	v_mul_lo_u32 v4, v69, s24
	v_mul_lo_u32 v9, v68, s25
	s_load_dwordx2 s[0:1], s[6:7], 0x0
	v_mad_u64_u32 v[7:8], null, v68, s24, 0
	s_load_dwordx2 s[24:25], s[2:3], 0x0
	s_add_u32 s22, s22, 1
	s_addc_u32 s23, s23, 0
	s_add_u32 s2, s2, 8
	s_addc_u32 s3, s3, 0
	s_add_u32 s6, s6, 8
	v_add3_u32 v4, v8, v9, v4
	v_sub_co_u32 v5, vcc_lo, v5, v7
	s_addc_u32 s7, s7, 0
	s_add_u32 s20, s20, 8
	v_sub_co_ci_u32_e32 v4, vcc_lo, v6, v4, vcc_lo
	s_addc_u32 s21, s21, 0
	s_waitcnt lgkmcnt(0)
	v_mul_lo_u32 v6, s0, v4
	v_mul_lo_u32 v7, s1, v5
	v_mad_u64_u32 v[1:2], null, s0, v5, v[1:2]
	v_mul_lo_u32 v4, s24, v4
	v_mul_lo_u32 v8, s25, v5
	v_mad_u64_u32 v[64:65], null, s24, v5, v[64:65]
	v_cmp_ge_u64_e64 s0, s[22:23], s[14:15]
	v_add3_u32 v2, v7, v2, v6
	v_add3_u32 v65, v8, v65, v4
	s_and_b32 vcc_lo, exec_lo, s0
	s_cbranch_vccnz .LBB0_9
; %bb.7:                                ;   in Loop: Header=BB0_2 Depth=1
	v_mov_b32_e32 v5, v68
	v_mov_b32_e32 v6, v69
	s_branch .LBB0_2
.LBB0_8:
	v_mov_b32_e32 v65, v2
	v_mov_b32_e32 v69, v6
	;; [unrolled: 1-line block ×4, first 2 shown]
.LBB0_9:
	s_load_dwordx2 s[0:1], s[4:5], 0x28
	v_mul_hi_u32 v3, 0x183c978, v0
	s_lshl_b64 s[4:5], s[14:15], 3
                                        ; implicit-def: $vgpr66
	s_add_u32 s2, s18, s4
	s_addc_u32 s3, s19, s5
	s_waitcnt lgkmcnt(0)
	v_cmp_gt_u64_e32 vcc_lo, s[0:1], v[68:69]
	v_cmp_le_u64_e64 s0, s[0:1], v[68:69]
	s_and_saveexec_b32 s1, s0
	s_xor_b32 s0, exec_lo, s1
; %bb.10:
	v_mul_u32_u24_e32 v1, 0xa9, v3
                                        ; implicit-def: $vgpr3
	v_sub_nc_u32_e32 v66, v0, v1
                                        ; implicit-def: $vgpr0
                                        ; implicit-def: $vgpr1_vgpr2
; %bb.11:
	s_andn2_saveexec_b32 s1, s0
	s_cbranch_execz .LBB0_13
; %bb.12:
	s_add_u32 s4, s16, s4
	s_addc_u32 s5, s17, s5
	v_lshlrev_b64 v[1:2], 4, v[1:2]
	s_load_dwordx2 s[4:5], s[4:5], 0x0
	s_waitcnt lgkmcnt(0)
	v_mul_lo_u32 v6, s5, v68
	v_mul_lo_u32 v7, s4, v69
	v_mad_u64_u32 v[4:5], null, s4, v68, 0
	v_add3_u32 v5, v5, v7, v6
	v_mul_u32_u24_e32 v6, 0xa9, v3
	v_lshlrev_b64 v[3:4], 4, v[4:5]
	v_sub_nc_u32_e32 v66, v0, v6
	v_lshlrev_b32_e32 v40, 4, v66
	v_add_co_u32 v0, s0, s8, v3
	v_add_co_ci_u32_e64 v3, s0, s9, v4, s0
	v_add_co_u32 v0, s0, v0, v1
	v_add_co_ci_u32_e64 v1, s0, v3, v2, s0
	;; [unrolled: 2-line block ×3, first 2 shown]
	v_add_nc_u32_e32 v40, 0, v40
	v_add_co_u32 v4, s0, 0x800, v0
	v_add_co_ci_u32_e64 v5, s0, 0, v1, s0
	v_add_co_u32 v8, s0, 0x1000, v0
	v_add_co_ci_u32_e64 v9, s0, 0, v1, s0
	;; [unrolled: 2-line block ×9, first 2 shown]
	s_clause 0x9
	global_load_dwordx4 v[0:3], v[0:1], off
	global_load_dwordx4 v[4:7], v[4:5], off offset:656
	global_load_dwordx4 v[8:11], v[8:9], off offset:1312
	;; [unrolled: 1-line block ×9, first 2 shown]
	s_waitcnt vmcnt(9)
	ds_write_b128 v40, v[0:3]
	s_waitcnt vmcnt(8)
	ds_write_b128 v40, v[4:7] offset:2704
	s_waitcnt vmcnt(7)
	ds_write_b128 v40, v[8:11] offset:5408
	;; [unrolled: 2-line block ×9, first 2 shown]
.LBB0_13:
	s_or_b32 exec_lo, exec_lo, s1
	v_lshl_add_u32 v190, v66, 4, 0
	s_waitcnt lgkmcnt(0)
	s_barrier
	buffer_gl0_inv
	s_mov_b32 s6, 0x4267c47c
	ds_read_b128 v[12:15], v190 offset:24960
	ds_read_b128 v[20:23], v190 offset:2080
	;; [unrolled: 1-line block ×4, first 2 shown]
	ds_read_b128 v[24:27], v190
	s_mov_b32 s4, 0x42a4c3d2
	s_mov_b32 s22, 0x66966769
	;; [unrolled: 1-line block ×5, first 2 shown]
	ds_read_b128 v[48:51], v190 offset:6240
	ds_read_b128 v[28:31], v190 offset:20800
	s_mov_b32 s8, 0xe00740e9
	s_mov_b32 s14, 0x1ea71119
	;; [unrolled: 1-line block ×10, first 2 shown]
	ds_read_b128 v[60:63], v190 offset:8320
	ds_read_b128 v[56:59], v190 offset:10400
	;; [unrolled: 1-line block ×4, first 2 shown]
	s_mov_b32 s26, 0xb2365da1
	s_waitcnt lgkmcnt(9)
	v_add_f64 v[72:73], v[22:23], -v[14:15]
	v_add_f64 v[70:71], v[20:21], -v[12:13]
	s_waitcnt lgkmcnt(7)
	v_add_f64 v[90:91], v[42:43], -v[18:19]
	v_add_f64 v[150:151], v[40:41], -v[16:17]
	v_add_f64 v[142:143], v[20:21], v[12:13]
	v_add_f64 v[178:179], v[22:23], v[14:15]
	;; [unrolled: 1-line block ×3, first 2 shown]
	s_waitcnt lgkmcnt(4)
	v_add_f64 v[112:113], v[50:51], -v[30:31]
	v_add_f64 v[82:83], v[48:49], -v[28:29]
	v_add_f64 v[182:183], v[42:43], v[18:19]
	s_mov_b32 s20, 0x93053d00
	s_mov_b32 s27, 0xbfd6b1d8
	;; [unrolled: 1-line block ×5, first 2 shown]
	v_add_f64 v[78:79], v[48:49], v[28:29]
	v_add_f64 v[174:175], v[50:51], v[30:31]
	s_waitcnt lgkmcnt(1)
	v_add_f64 v[122:123], v[62:63], -v[34:35]
	v_add_f64 v[80:81], v[60:61], -v[32:33]
	s_mov_b32 s30, 0x24c2f84
	s_mov_b32 s31, 0x3fe5384d
	;; [unrolled: 1-line block ×3, first 2 shown]
	v_mul_f64 v[102:103], v[72:73], s[6:7]
	v_mul_f64 v[120:121], v[70:71], s[6:7]
	;; [unrolled: 1-line block ×18, first 2 shown]
	s_mov_b32 s36, s6
	v_add_f64 v[86:87], v[60:61], v[32:33]
	v_add_f64 v[184:185], v[62:63], v[34:35]
	s_waitcnt lgkmcnt(0)
	v_add_f64 v[136:137], v[58:59], -v[38:39]
	v_fma_f64 v[0:1], v[142:143], s[8:9], v[102:103]
	v_fma_f64 v[2:3], v[178:179], s[8:9], -v[120:121]
	v_fma_f64 v[4:5], v[142:143], s[14:15], v[126:127]
	v_fma_f64 v[6:7], v[178:179], s[14:15], -v[132:133]
	;; [unrolled: 2-line block ×6, first 2 shown]
	v_add_f64 v[74:75], v[56:57], -v[36:37]
	v_mul_f64 v[108:109], v[122:123], s[24:25]
	v_mul_f64 v[118:119], v[80:81], s[24:25]
	;; [unrolled: 1-line block ×5, first 2 shown]
	v_fma_f64 v[148:149], v[78:79], s[16:17], v[88:89]
	v_fma_f64 v[154:155], v[174:175], s[16:17], -v[94:95]
	v_fma_f64 v[156:157], v[78:79], s[20:21], v[98:99]
	v_fma_f64 v[166:167], v[78:79], s[26:27], v[116:117]
	v_add_f64 v[0:1], v[24:25], v[0:1]
	v_add_f64 v[2:3], v[26:27], v[2:3]
	;; [unrolled: 1-line block ×6, first 2 shown]
	v_mul_f64 v[170:171], v[80:81], s[36:37]
	v_fma_f64 v[168:169], v[174:175], s[26:27], -v[164:165]
	ds_read_b128 v[52:55], v190 offset:12480
	ds_read_b128 v[44:47], v190 offset:14560
	s_mov_b32 s28, 0xd0032e0c
	s_mov_b32 s29, 0xbfe7f3cc
	;; [unrolled: 1-line block ×6, first 2 shown]
	v_add_f64 v[186:187], v[58:59], v[38:39]
	v_mul_f64 v[146:147], v[136:137], s[34:35]
	v_mul_f64 v[152:153], v[74:75], s[34:35]
	;; [unrolled: 1-line block ×3, first 2 shown]
	v_fma_f64 v[191:192], v[86:87], s[26:27], v[108:109]
	v_fma_f64 v[193:194], v[184:185], s[26:27], -v[118:119]
	v_fma_f64 v[195:196], v[86:87], s[28:29], v[124:125]
	v_add_f64 v[0:1], v[76:77], v[0:1]
	v_add_f64 v[2:3], v[96:97], v[2:3]
	;; [unrolled: 1-line block ×3, first 2 shown]
	v_fma_f64 v[110:111], v[174:175], s[20:21], -v[106:107]
	v_add_f64 v[6:7], v[130:131], v[6:7]
	v_add_f64 v[8:9], v[138:139], v[8:9]
	;; [unrolled: 1-line block ×4, first 2 shown]
	s_waitcnt lgkmcnt(0)
	v_add_f64 v[160:161], v[54:55], -v[46:47]
	v_add_f64 v[76:77], v[52:53], -v[44:45]
	v_mul_f64 v[130:131], v[136:137], s[38:39]
	v_mul_f64 v[138:139], v[74:75], s[38:39]
	;; [unrolled: 1-line block ×3, first 2 shown]
	v_fma_f64 v[197:198], v[184:185], s[28:29], -v[128:129]
	v_fma_f64 v[199:200], v[86:87], s[8:9], v[134:135]
	v_fma_f64 v[201:202], v[184:185], s[8:9], -v[170:171]
	v_add_f64 v[188:189], v[54:55], v[46:47]
	v_fma_f64 v[209:210], v[186:187], s[16:17], -v[152:153]
	v_cmp_gt_u32_e64 s0, 0x82, v66
	s_barrier
	buffer_gl0_inv
	v_add_f64 v[0:1], v[148:149], v[0:1]
	v_add_f64 v[2:3], v[154:155], v[2:3]
	;; [unrolled: 1-line block ×7, first 2 shown]
	v_mul_f64 v[140:141], v[160:161], s[18:19]
	v_mul_f64 v[148:149], v[76:77], s[18:19]
	;; [unrolled: 1-line block ×6, first 2 shown]
	v_fma_f64 v[203:204], v[96:97], s[28:29], v[130:131]
	v_fma_f64 v[205:206], v[186:187], s[28:29], -v[138:139]
	v_fma_f64 v[207:208], v[96:97], s[16:17], v[146:147]
	v_fma_f64 v[211:212], v[96:97], s[14:15], v[162:163]
	v_fma_f64 v[213:214], v[186:187], s[14:15], -v[172:173]
	v_add_f64 v[0:1], v[191:192], v[0:1]
	v_add_f64 v[2:3], v[193:194], v[2:3]
	;; [unrolled: 1-line block ×6, first 2 shown]
	v_fma_f64 v[191:192], v[110:111], s[20:21], v[140:141]
	v_fma_f64 v[193:194], v[188:189], s[20:21], -v[148:149]
	v_fma_f64 v[195:196], v[110:111], s[8:9], v[154:155]
	v_fma_f64 v[197:198], v[188:189], s[8:9], -v[156:157]
	;; [unrolled: 2-line block ×3, first 2 shown]
	v_add_f64 v[0:1], v[203:204], v[0:1]
	v_add_f64 v[2:3], v[205:206], v[2:3]
	;; [unrolled: 1-line block ×12, first 2 shown]
	s_and_saveexec_b32 s1, s0
	s_cbranch_execz .LBB0_15
; %bb.14:
	v_add_f64 v[22:23], v[26:27], v[22:23]
	v_add_f64 v[20:21], v[24:25], v[20:21]
	v_mul_f64 v[193:194], v[72:73], s[18:19]
	v_mul_f64 v[207:208], v[72:73], s[38:39]
	v_mul_f64 v[217:218], v[90:91], s[36:37]
	v_mul_f64 v[233:234], v[90:91], s[34:35]
	v_mul_f64 v[191:192], v[178:179], s[20:21]
	v_mul_f64 v[203:204], v[178:179], s[28:29]
	v_mul_f64 v[253:254], v[112:113], s[4:5]
	s_mov_b32 s43, 0x3fcea1e5
	s_mov_b32 s42, s18
	v_mul_f64 v[229:230], v[182:183], s[16:17]
	v_mul_f64 v[195:196], v[142:143], s[8:9]
	;; [unrolled: 1-line block ×11, first 2 shown]
	v_add_f64 v[22:23], v[22:23], v[42:43]
	v_add_f64 v[20:21], v[20:21], v[40:41]
	v_fma_f64 v[219:220], v[142:143], s[20:21], v[193:194]
	v_fma_f64 v[193:194], v[142:143], s[20:21], -v[193:194]
	v_fma_f64 v[235:236], v[142:143], s[28:29], v[207:208]
	v_fma_f64 v[207:208], v[142:143], s[28:29], -v[207:208]
	;; [unrolled: 2-line block ×3, first 2 shown]
	v_mul_f64 v[40:41], v[182:183], s[8:9]
	v_fma_f64 v[42:43], v[70:71], s[42:43], v[191:192]
	v_fma_f64 v[191:192], v[70:71], s[18:19], v[191:192]
	;; [unrolled: 1-line block ×4, first 2 shown]
	v_mul_f64 v[245:246], v[112:113], s[38:39]
	v_mul_f64 v[247:248], v[174:175], s[14:15]
	v_fma_f64 v[249:250], v[150:151], s[22:23], v[229:230]
	v_mul_f64 v[182:183], v[182:183], s[28:29]
	v_mul_f64 v[178:179], v[178:179], s[26:27]
	;; [unrolled: 1-line block ×4, first 2 shown]
	s_mov_b32 s45, 0x3fea55e2
	s_mov_b32 s44, s4
	v_add_f64 v[22:23], v[22:23], v[50:51]
	v_add_f64 v[20:21], v[20:21], v[48:49]
	v_fma_f64 v[50:51], v[84:85], s[8:9], v[217:218]
	v_fma_f64 v[217:218], v[84:85], s[8:9], -v[217:218]
	v_add_f64 v[193:194], v[24:25], v[193:194]
	v_add_f64 v[235:236], v[24:25], v[235:236]
	v_add_f64 v[207:208], v[24:25], v[207:208]
	v_add_f64 v[219:220], v[24:25], v[219:220]
	v_fma_f64 v[48:49], v[150:151], s[6:7], v[40:41]
	v_add_f64 v[42:43], v[26:27], v[42:43]
	v_fma_f64 v[40:41], v[150:151], s[36:37], v[40:41]
	v_add_f64 v[191:192], v[26:27], v[191:192]
	v_add_f64 v[231:232], v[26:27], v[231:232]
	v_add_f64 v[120:121], v[120:121], v[197:198]
	v_add_f64 v[102:103], v[195:196], -v[102:103]
	v_mul_f64 v[215:216], v[84:85], s[26:27]
	v_add_f64 v[132:133], v[132:133], v[201:202]
	v_add_f64 v[126:127], v[199:200], -v[126:127]
	v_mul_f64 v[223:224], v[84:85], s[20:21]
	v_fma_f64 v[229:230], v[150:151], s[34:35], v[229:230]
	v_add_f64 v[203:204], v[26:27], v[203:204]
	v_add_f64 v[158:159], v[158:159], v[209:210]
	v_add_f64 v[22:23], v[22:23], v[62:63]
	v_add_f64 v[20:21], v[20:21], v[60:61]
	v_mul_f64 v[60:61], v[184:185], s[14:15]
	v_mul_f64 v[62:63], v[122:123], s[44:45]
	v_add_f64 v[193:194], v[217:218], v[193:194]
	v_mul_f64 v[217:218], v[122:123], s[42:43]
	v_add_f64 v[235:236], v[251:252], v[235:236]
	v_fma_f64 v[251:252], v[78:79], s[14:15], v[253:254]
	v_add_f64 v[207:208], v[233:234], v[207:208]
	v_fma_f64 v[253:254], v[78:79], s[14:15], -v[253:254]
	v_add_f64 v[42:43], v[48:49], v[42:43]
	v_fma_f64 v[48:49], v[82:83], s[30:31], v[243:244]
	v_fma_f64 v[243:244], v[82:83], s[38:39], v[243:244]
	v_add_f64 v[40:41], v[40:41], v[191:192]
	v_add_f64 v[50:51], v[50:51], v[219:220]
	v_fma_f64 v[219:220], v[78:79], s[28:29], v[245:246]
	v_mul_f64 v[191:192], v[184:185], s[20:21]
	v_fma_f64 v[245:246], v[78:79], s[28:29], -v[245:246]
	v_add_f64 v[231:232], v[249:250], v[231:232]
	v_fma_f64 v[249:250], v[82:83], s[44:45], v[247:248]
	v_add_f64 v[104:105], v[205:206], -v[104:105]
	v_mul_f64 v[90:91], v[90:91], s[30:31]
	v_add_f64 v[22:23], v[22:23], v[58:59]
	v_add_f64 v[20:21], v[20:21], v[56:57]
	v_mul_f64 v[227:228], v[78:79], s[16:17]
	v_mul_f64 v[237:238], v[174:175], s[16:17]
	v_add_f64 v[100:101], v[100:101], v[213:214]
	v_add_f64 v[120:121], v[26:27], v[120:121]
	v_add_f64 v[92:93], v[211:212], -v[92:93]
	v_add_f64 v[235:236], v[251:252], v[235:236]
	v_fma_f64 v[251:252], v[86:87], s[20:21], v[217:218]
	v_add_f64 v[207:208], v[253:254], v[207:208]
	v_fma_f64 v[217:218], v[86:87], s[20:21], -v[217:218]
	v_add_f64 v[102:103], v[24:25], v[102:103]
	v_mul_f64 v[239:240], v[78:79], s[20:21]
	v_mul_f64 v[241:242], v[174:175], s[20:21]
	;; [unrolled: 1-line block ×3, first 2 shown]
	v_add_f64 v[42:43], v[48:49], v[42:43]
	v_fma_f64 v[48:49], v[80:81], s[4:5], v[60:61]
	v_add_f64 v[40:41], v[243:244], v[40:41]
	v_fma_f64 v[60:61], v[80:81], s[44:45], v[60:61]
	v_add_f64 v[144:145], v[144:145], v[221:222]
	v_add_f64 v[132:133], v[26:27], v[132:133]
	v_add_f64 v[114:115], v[215:216], -v[114:115]
	v_add_f64 v[22:23], v[22:23], v[54:55]
	v_add_f64 v[20:21], v[20:21], v[52:53]
	;; [unrolled: 1-line block ×4, first 2 shown]
	v_mul_f64 v[229:230], v[78:79], s[26:27]
	v_mul_f64 v[56:57], v[174:175], s[26:27]
	v_add_f64 v[50:51], v[219:220], v[50:51]
	v_fma_f64 v[219:220], v[86:87], s[14:15], v[62:63]
	v_mul_f64 v[243:244], v[136:137], s[24:25]
	v_fma_f64 v[62:63], v[86:87], s[14:15], -v[62:63]
	v_add_f64 v[207:208], v[217:218], v[207:208]
	v_fma_f64 v[217:218], v[150:151], s[38:39], v[182:183]
	v_fma_f64 v[150:151], v[150:151], s[30:31], v[182:183]
	;; [unrolled: 1-line block ×5, first 2 shown]
	v_fma_f64 v[72:73], v[142:143], s[26:27], -v[72:73]
	v_add_f64 v[193:194], v[245:246], v[193:194]
	v_add_f64 v[231:232], v[249:250], v[231:232]
	v_fma_f64 v[249:250], v[80:81], s[18:19], v[191:192]
	v_add_f64 v[180:181], v[180:181], v[225:226]
	v_add_f64 v[176:177], v[223:224], -v[176:177]
	v_add_f64 v[22:23], v[22:23], v[46:47]
	v_add_f64 v[20:21], v[20:21], v[44:45]
	v_mul_f64 v[174:175], v[174:175], s[8:9]
	v_add_f64 v[158:159], v[26:27], v[158:159]
	v_add_f64 v[104:105], v[24:25], v[104:105]
	v_fma_f64 v[247:248], v[82:83], s[4:5], v[247:248]
	v_mul_f64 v[112:113], v[112:113], s[36:37]
	v_fma_f64 v[211:212], v[84:85], s[28:29], -v[90:91]
	v_fma_f64 v[84:85], v[84:85], s[28:29], v[90:91]
	v_mul_f64 v[245:246], v[186:187], s[8:9]
	v_mul_f64 v[233:234], v[86:87], s[26:27]
	;; [unrolled: 1-line block ×3, first 2 shown]
	v_add_f64 v[94:95], v[94:95], v[237:238]
	v_add_f64 v[100:101], v[100:101], v[120:121]
	;; [unrolled: 1-line block ×6, first 2 shown]
	v_add_f64 v[88:89], v[227:228], -v[88:89]
	v_mul_f64 v[54:55], v[86:87], s[28:29]
	v_add_f64 v[42:43], v[48:49], v[42:43]
	v_mul_f64 v[48:49], v[184:185], s[28:29]
	v_add_f64 v[22:23], v[22:23], v[38:39]
	v_add_f64 v[20:21], v[20:21], v[36:37]
	;; [unrolled: 1-line block ×4, first 2 shown]
	v_fma_f64 v[60:61], v[74:75], s[40:41], v[58:59]
	v_add_f64 v[106:107], v[106:107], v[241:242]
	v_add_f64 v[132:133], v[144:145], v[132:133]
	v_add_f64 v[98:99], v[239:240], -v[98:99]
	v_add_f64 v[38:39], v[114:115], v[126:127]
	v_add_f64 v[50:51], v[219:220], v[50:51]
	v_mul_f64 v[219:220], v[86:87], s[8:9]
	v_add_f64 v[62:63], v[62:63], v[193:194]
	v_fma_f64 v[193:194], v[96:97], s[26:27], v[243:244]
	v_fma_f64 v[58:59], v[74:75], s[24:25], v[58:59]
	v_add_f64 v[231:232], v[249:250], v[231:232]
	v_mul_f64 v[249:250], v[184:185], s[8:9]
	v_mul_f64 v[184:185], v[184:185], s[16:17]
	v_fma_f64 v[213:214], v[82:83], s[6:7], v[174:175]
	v_fma_f64 v[82:83], v[82:83], s[36:37], v[174:175]
	v_add_f64 v[70:71], v[150:151], v[70:71]
	v_add_f64 v[56:57], v[164:165], v[56:57]
	;; [unrolled: 1-line block ×3, first 2 shown]
	v_add_f64 v[116:117], v[229:230], -v[116:117]
	v_add_f64 v[92:93], v[176:177], v[104:105]
	v_add_f64 v[203:204], v[247:248], v[203:204]
	v_fma_f64 v[191:192], v[80:81], s[42:43], v[191:192]
	v_mul_f64 v[122:123], v[122:123], s[22:23]
	v_fma_f64 v[90:91], v[78:79], s[8:9], -v[112:113]
	v_add_f64 v[72:73], v[211:212], v[72:73]
	v_mul_f64 v[247:248], v[136:137], s[36:37]
	v_add_f64 v[26:27], v[217:218], v[26:27]
	v_fma_f64 v[78:79], v[78:79], s[8:9], v[112:113]
	v_add_f64 v[24:25], v[84:85], v[24:25]
	v_add_f64 v[22:23], v[22:23], v[34:35]
	;; [unrolled: 1-line block ×3, first 2 shown]
	v_fma_f64 v[243:244], v[96:97], s[26:27], -v[243:244]
	v_add_f64 v[235:236], v[251:252], v[235:236]
	v_fma_f64 v[251:252], v[74:75], s[6:7], v[245:246]
	v_mul_f64 v[253:254], v[96:97], s[28:29]
	v_mul_f64 v[44:45], v[186:187], s[28:29]
	v_add_f64 v[52:53], v[118:119], v[52:53]
	v_add_f64 v[94:95], v[94:95], v[100:101]
	v_add_f64 v[100:101], v[233:234], -v[108:109]
	v_add_f64 v[32:33], v[88:89], v[36:37]
	v_mul_f64 v[46:47], v[96:97], s[16:17]
	v_add_f64 v[42:43], v[60:61], v[42:43]
	v_mul_f64 v[60:61], v[186:187], s[16:17]
	v_add_f64 v[48:49], v[128:129], v[48:49]
	v_add_f64 v[106:107], v[106:107], v[132:133]
	v_add_f64 v[54:55], v[54:55], -v[124:125]
	v_add_f64 v[34:35], v[98:99], v[38:39]
	v_add_f64 v[50:51], v[193:194], v[50:51]
	v_mul_f64 v[193:194], v[96:97], s[14:15]
	v_add_f64 v[40:41], v[58:59], v[40:41]
	v_mul_f64 v[58:59], v[186:187], s[14:15]
	v_mul_f64 v[186:187], v[186:187], s[20:21]
	v_fma_f64 v[215:216], v[80:81], s[34:35], v[184:185]
	v_fma_f64 v[80:81], v[80:81], s[22:23], v[184:185]
	v_add_f64 v[70:71], v[82:83], v[70:71]
	v_add_f64 v[84:85], v[170:171], v[249:250]
	;; [unrolled: 1-line block ×3, first 2 shown]
	v_add_f64 v[104:105], v[219:220], -v[134:135]
	v_add_f64 v[36:37], v[116:117], v[92:93]
	v_add_f64 v[191:192], v[191:192], v[203:204]
	v_fma_f64 v[245:246], v[74:75], s[36:37], v[245:246]
	v_mul_f64 v[102:103], v[136:137], s[42:43]
	v_fma_f64 v[82:83], v[86:87], s[16:17], -v[122:123]
	v_add_f64 v[38:39], v[90:91], v[72:73]
	v_fma_f64 v[203:204], v[96:97], s[8:9], v[247:248]
	v_add_f64 v[26:27], v[213:214], v[26:27]
	v_fma_f64 v[86:87], v[86:87], s[16:17], v[122:123]
	v_add_f64 v[24:25], v[78:79], v[24:25]
	v_add_f64 v[22:23], v[22:23], v[30:31]
	;; [unrolled: 1-line block ×4, first 2 shown]
	v_mul_f64 v[243:244], v[110:111], s[20:21]
	v_add_f64 v[231:232], v[251:252], v[231:232]
	v_mul_f64 v[251:252], v[188:189], s[16:17]
	v_mul_f64 v[225:226], v[188:189], s[20:21]
	v_add_f64 v[44:45], v[138:139], v[44:45]
	v_add_f64 v[52:53], v[52:53], v[94:95]
	v_add_f64 v[88:89], v[253:254], -v[130:131]
	v_add_f64 v[28:29], v[100:101], v[32:33]
	v_mul_f64 v[209:210], v[110:111], s[8:9]
	v_mul_f64 v[223:224], v[188:189], s[8:9]
	v_add_f64 v[60:61], v[152:153], v[60:61]
	v_add_f64 v[48:49], v[48:49], v[106:107]
	v_add_f64 v[46:47], v[46:47], -v[146:147]
	v_add_f64 v[30:31], v[54:55], v[34:35]
	v_mul_f64 v[201:202], v[110:111], s[28:29]
	v_mul_f64 v[199:200], v[188:189], s[28:29]
	v_fma_f64 v[78:79], v[74:75], s[42:43], v[186:187]
	v_add_f64 v[70:71], v[80:81], v[70:71]
	v_add_f64 v[58:59], v[172:173], v[58:59]
	;; [unrolled: 1-line block ×3, first 2 shown]
	v_add_f64 v[84:85], v[193:194], -v[162:163]
	v_add_f64 v[32:33], v[104:105], v[36:37]
	v_add_f64 v[191:192], v[245:246], v[191:192]
	v_mul_f64 v[245:246], v[188:189], s[26:27]
	v_mul_f64 v[188:189], v[188:189], s[14:15]
	v_mul_f64 v[72:73], v[160:161], s[44:45]
	v_fma_f64 v[80:81], v[96:97], s[20:21], -v[102:103]
	v_add_f64 v[34:35], v[82:83], v[38:39]
	v_mul_f64 v[142:143], v[160:161], s[24:25]
	v_fma_f64 v[247:248], v[96:97], s[8:9], -v[247:248]
	v_add_f64 v[203:204], v[203:204], v[235:236]
	v_mul_f64 v[235:236], v[160:161], s[34:35]
	v_fma_f64 v[36:37], v[74:75], s[18:19], v[186:187]
	v_add_f64 v[26:27], v[215:216], v[26:27]
	v_fma_f64 v[38:39], v[96:97], s[20:21], v[102:103]
	v_add_f64 v[24:25], v[86:87], v[24:25]
	v_add_f64 v[90:91], v[22:23], v[18:19]
	v_add_f64 v[92:93], v[20:21], v[16:17]
	v_fma_f64 v[197:198], v[76:77], s[22:23], v[251:252]
	v_fma_f64 v[251:252], v[76:77], s[34:35], v[251:252]
	v_add_f64 v[86:87], v[148:149], v[225:226]
	v_add_f64 v[44:45], v[44:45], v[52:53]
	v_add_f64 v[52:53], v[243:244], -v[140:141]
	v_add_f64 v[28:29], v[88:89], v[28:29]
	v_add_f64 v[82:83], v[156:157], v[223:224]
	;; [unrolled: 1-line block ×3, first 2 shown]
	v_add_f64 v[60:61], v[209:210], -v[154:155]
	v_add_f64 v[46:47], v[46:47], v[30:31]
	v_add_f64 v[70:71], v[78:79], v[70:71]
	;; [unrolled: 1-line block ×4, first 2 shown]
	v_add_f64 v[58:59], v[201:202], -v[166:167]
	v_add_f64 v[32:33], v[84:85], v[32:33]
	v_fma_f64 v[54:55], v[76:77], s[44:45], v[188:189]
	v_fma_f64 v[74:75], v[110:111], s[14:15], -v[72:73]
	v_add_f64 v[80:81], v[80:81], v[34:35]
	v_fma_f64 v[205:206], v[76:77], s[40:41], v[245:246]
	v_fma_f64 v[221:222], v[110:111], s[26:27], v[142:143]
	;; [unrolled: 1-line block ×3, first 2 shown]
	v_fma_f64 v[142:143], v[110:111], s[26:27], -v[142:143]
	v_add_f64 v[84:85], v[247:248], v[207:208]
	v_fma_f64 v[195:196], v[110:111], s[16:17], v[235:236]
	v_fma_f64 v[235:236], v[110:111], s[16:17], -v[235:236]
	v_fma_f64 v[76:77], v[76:77], s[4:5], v[188:189]
	v_add_f64 v[88:89], v[36:37], v[26:27]
	v_fma_f64 v[72:73], v[110:111], s[14:15], v[72:73]
	v_add_f64 v[94:95], v[38:39], v[24:25]
	v_add_f64 v[14:15], v[90:91], v[14:15]
	;; [unrolled: 1-line block ×19, first 2 shown]
	v_mad_u32_u24 v52, 0xc0, v66, v190
	v_add_f64 v[50:51], v[76:77], v[88:89]
	v_add_f64 v[48:49], v[72:73], v[94:95]
	ds_write_b128 v52, v[12:15]
	ds_write_b128 v52, v[40:43] offset:16
	ds_write_b128 v52, v[36:39] offset:32
	;; [unrolled: 1-line block ×12, first 2 shown]
.LBB0_15:
	s_or_b32 exec_lo, exec_lo, s1
	v_and_b32_e32 v12, 0xff, v66
	v_mov_b32_e32 v13, 9
	s_load_dwordx2 s[2:3], s[2:3], 0x0
	s_waitcnt lgkmcnt(0)
	s_barrier
	v_mul_lo_u16 v12, 0x4f, v12
	buffer_gl0_inv
	s_mov_b32 s4, 0x134454ff
	s_mov_b32 s5, 0x3fee6f0e
	;; [unrolled: 1-line block ×3, first 2 shown]
	v_lshrrev_b16 v52, 10, v12
	s_mov_b32 s14, s4
	s_mov_b32 s6, 0x4755a5e
	;; [unrolled: 1-line block ×4, first 2 shown]
	v_mul_lo_u16 v12, v52, 13
	s_mov_b32 s16, s6
	s_mov_b32 s8, 0x372fe950
	;; [unrolled: 1-line block ×4, first 2 shown]
	v_sub_nc_u16 v53, v66, v12
	s_mov_b32 s19, 0x3fe9e377
	v_mul_u32_u24_sdwa v12, v53, v13 dst_sel:DWORD dst_unused:UNUSED_PAD src0_sel:BYTE_0 src1_sel:DWORD
	v_lshlrev_b32_e32 v44, 4, v12
	s_clause 0x8
	global_load_dwordx4 v[12:15], v44, s[12:13] offset:32
	global_load_dwordx4 v[16:19], v44, s[12:13] offset:64
	;; [unrolled: 1-line block ×4, first 2 shown]
	global_load_dwordx4 v[28:31], v44, s[12:13]
	global_load_dwordx4 v[32:35], v44, s[12:13] offset:16
	global_load_dwordx4 v[36:39], v44, s[12:13] offset:48
	;; [unrolled: 1-line block ×4, first 2 shown]
	ds_read_b128 v[48:51], v190 offset:8112
	ds_read_b128 v[54:57], v190 offset:13520
	;; [unrolled: 1-line block ×9, first 2 shown]
	s_waitcnt vmcnt(8) lgkmcnt(8)
	v_mul_f64 v[62:63], v[50:51], v[14:15]
	v_mul_f64 v[14:15], v[48:49], v[14:15]
	s_waitcnt vmcnt(7) lgkmcnt(7)
	v_mul_f64 v[94:95], v[56:57], v[18:19]
	v_mul_f64 v[18:19], v[54:55], v[18:19]
	s_waitcnt vmcnt(6) lgkmcnt(6)
	v_mul_f64 v[96:97], v[60:61], v[22:23]
	v_mul_f64 v[22:23], v[58:59], v[22:23]
	s_waitcnt vmcnt(5) lgkmcnt(5)
	v_mul_f64 v[98:99], v[70:71], v[26:27]
	v_mul_f64 v[26:27], v[72:73], v[26:27]
	s_waitcnt vmcnt(4) lgkmcnt(4)
	v_mul_f64 v[100:101], v[76:77], v[30:31]
	v_mul_f64 v[30:31], v[74:75], v[30:31]
	s_waitcnt vmcnt(3) lgkmcnt(3)
	v_mul_f64 v[102:103], v[80:81], v[34:35]
	v_mul_f64 v[34:35], v[78:79], v[34:35]
	s_waitcnt vmcnt(2) lgkmcnt(2)
	v_mul_f64 v[104:105], v[84:85], v[38:39]
	v_mul_f64 v[38:39], v[82:83], v[38:39]
	s_waitcnt vmcnt(1) lgkmcnt(1)
	v_mul_f64 v[106:107], v[88:89], v[42:43]
	v_mul_f64 v[42:43], v[86:87], v[42:43]
	s_waitcnt vmcnt(0) lgkmcnt(0)
	v_mul_f64 v[108:109], v[90:91], v[46:47]
	v_fma_f64 v[48:49], v[48:49], v[12:13], -v[62:63]
	v_fma_f64 v[50:51], v[50:51], v[12:13], v[14:15]
	v_fma_f64 v[54:55], v[54:55], v[16:17], -v[94:95]
	v_fma_f64 v[16:17], v[56:57], v[16:17], v[18:19]
	;; [unrolled: 2-line block ×3, first 2 shown]
	v_fma_f64 v[22:23], v[72:73], v[24:25], v[98:99]
	v_fma_f64 v[24:25], v[70:71], v[24:25], -v[26:27]
	v_mul_f64 v[26:27], v[92:93], v[46:47]
	v_fma_f64 v[56:57], v[74:75], v[28:29], -v[100:101]
	v_fma_f64 v[28:29], v[76:77], v[28:29], v[30:31]
	v_fma_f64 v[46:47], v[78:79], v[32:33], -v[102:103]
	v_fma_f64 v[32:33], v[80:81], v[32:33], v[34:35]
	v_fma_f64 v[34:35], v[82:83], v[36:37], -v[104:105]
	v_fma_f64 v[36:37], v[84:85], v[36:37], v[38:39]
	v_fma_f64 v[38:39], v[86:87], v[40:41], -v[106:107]
	v_fma_f64 v[40:41], v[88:89], v[40:41], v[42:43]
	v_fma_f64 v[42:43], v[92:93], v[44:45], v[108:109]
	ds_read_b128 v[12:15], v190
	s_waitcnt lgkmcnt(0)
	s_barrier
	buffer_gl0_inv
	v_add_f64 v[102:103], v[48:49], -v[54:55]
	v_add_f64 v[106:107], v[54:55], -v[48:49]
	v_add_f64 v[30:31], v[54:55], v[18:19]
	v_add_f64 v[58:59], v[16:17], v[20:21]
	;; [unrolled: 1-line block ×4, first 2 shown]
	v_fma_f64 v[26:27], v[90:91], v[44:45], -v[26:27]
	v_add_f64 v[76:77], v[50:51], -v[22:23]
	v_add_f64 v[78:79], v[16:17], -v[20:21]
	;; [unrolled: 1-line block ×6, first 2 shown]
	v_add_f64 v[70:71], v[34:35], v[38:39]
	v_add_f64 v[96:97], v[36:37], v[40:41]
	;; [unrolled: 1-line block ×3, first 2 shown]
	v_add_f64 v[110:111], v[50:51], -v[16:17]
	v_add_f64 v[112:113], v[22:23], -v[20:21]
	;; [unrolled: 1-line block ×4, first 2 shown]
	v_add_f64 v[44:45], v[12:13], v[46:47]
	v_add_f64 v[72:73], v[32:33], -v[42:43]
	v_add_f64 v[74:75], v[36:37], -v[40:41]
	;; [unrolled: 1-line block ×3, first 2 shown]
	v_fma_f64 v[30:31], v[30:31], -0.5, v[56:57]
	v_fma_f64 v[58:59], v[58:59], -0.5, v[28:29]
	v_fma_f64 v[60:61], v[60:61], -0.5, v[28:29]
	v_fma_f64 v[62:63], v[62:63], -0.5, v[56:57]
	v_add_f64 v[88:89], v[46:47], v[26:27]
	v_add_f64 v[86:87], v[26:27], -v[38:39]
	v_add_f64 v[90:91], v[34:35], -v[46:47]
	;; [unrolled: 1-line block ×3, first 2 shown]
	v_add_f64 v[94:95], v[14:15], v[32:33]
	v_add_f64 v[46:47], v[46:47], -v[26:27]
	v_add_f64 v[98:99], v[34:35], -v[38:39]
	v_add_f64 v[48:49], v[56:57], v[48:49]
	v_add_f64 v[28:29], v[28:29], v[50:51]
	v_fma_f64 v[50:51], v[70:71], -0.5, v[12:13]
	v_fma_f64 v[56:57], v[96:97], -0.5, v[14:15]
	;; [unrolled: 1-line block ×3, first 2 shown]
	v_add_f64 v[70:71], v[102:103], v[104:105]
	v_add_f64 v[96:97], v[110:111], v[112:113]
	;; [unrolled: 1-line block ×3, first 2 shown]
	v_add_f64 v[126:127], v[32:33], -v[36:37]
	v_add_f64 v[128:129], v[42:43], -v[40:41]
	;; [unrolled: 1-line block ×3, first 2 shown]
	v_fma_f64 v[124:125], v[76:77], s[14:15], v[30:31]
	v_fma_f64 v[118:119], v[80:81], s[14:15], v[58:59]
	;; [unrolled: 1-line block ×8, first 2 shown]
	v_fma_f64 v[12:13], v[88:89], -0.5, v[12:13]
	v_add_f64 v[88:89], v[106:107], v[108:109]
	v_add_f64 v[130:131], v[40:41], -v[42:43]
	v_add_f64 v[34:35], v[44:45], v[34:35]
	v_add_f64 v[44:45], v[84:85], v[86:87]
	;; [unrolled: 1-line block ×5, first 2 shown]
	v_fma_f64 v[28:29], v[72:73], s[4:5], v[50:51]
	v_fma_f64 v[50:51], v[72:73], s[14:15], v[50:51]
	;; [unrolled: 1-line block ×10, first 2 shown]
	v_add_f64 v[76:77], v[90:91], v[92:93]
	v_fma_f64 v[54:55], v[74:75], s[14:15], v[12:13]
	v_fma_f64 v[12:13], v[74:75], s[4:5], v[12:13]
	;; [unrolled: 1-line block ×6, first 2 shown]
	v_add_f64 v[32:33], v[32:33], v[130:131]
	v_add_f64 v[34:35], v[34:35], v[38:39]
	;; [unrolled: 1-line block ×5, first 2 shown]
	v_fma_f64 v[20:21], v[74:75], s[6:7], v[28:29]
	v_fma_f64 v[28:29], v[74:75], s[16:17], v[50:51]
	;; [unrolled: 1-line block ×10, first 2 shown]
	v_add_f64 v[70:71], v[126:127], v[128:129]
	v_fma_f64 v[38:39], v[72:73], s[6:7], v[54:55]
	v_fma_f64 v[12:13], v[72:73], s[16:17], v[12:13]
	;; [unrolled: 1-line block ×6, first 2 shown]
	v_add_f64 v[26:27], v[34:35], v[26:27]
	v_add_f64 v[34:35], v[36:37], v[42:43]
	;; [unrolled: 1-line block ×4, first 2 shown]
	v_fma_f64 v[42:43], v[44:45], s[8:9], v[20:21]
	v_fma_f64 v[92:93], v[44:45], s[8:9], v[28:29]
	v_mul_f64 v[72:73], v[90:91], s[18:19]
	v_mul_f64 v[46:47], v[82:83], s[6:7]
	;; [unrolled: 1-line block ×8, first 2 shown]
	v_fma_f64 v[44:45], v[76:77], s[8:9], v[38:39]
	v_fma_f64 v[76:77], v[76:77], s[8:9], v[12:13]
	;; [unrolled: 1-line block ×6, first 2 shown]
	v_add_f64 v[12:13], v[26:27], v[18:19]
	v_add_f64 v[14:15], v[34:35], v[16:17]
	v_add_f64 v[36:37], v[26:27], -v[18:19]
	v_add_f64 v[38:39], v[34:35], -v[16:17]
	v_fma_f64 v[50:51], v[58:59], s[6:7], -v[72:73]
	v_fma_f64 v[32:33], v[30:31], s[18:19], v[46:47]
	v_fma_f64 v[40:41], v[62:63], s[8:9], v[54:55]
	v_fma_f64 v[46:47], v[60:61], s[4:5], -v[56:57]
	v_fma_f64 v[54:55], v[82:83], s[18:19], v[74:75]
	v_fma_f64 v[56:57], v[84:85], s[8:9], v[78:79]
	v_fma_f64 v[58:59], v[86:87], s[14:15], -v[80:81]
	v_fma_f64 v[60:61], v[90:91], s[16:17], -v[88:89]
	v_mov_b32_e32 v62, 0x820
	v_mov_b32_e32 v63, 4
	v_mul_u32_u24_sdwa v52, v52, v62 dst_sel:DWORD dst_unused:UNUSED_PAD src0_sel:WORD_0 src1_sel:DWORD
	v_lshlrev_b32_sdwa v53, v63, v53 dst_sel:DWORD dst_unused:UNUSED_PAD src0_sel:DWORD src1_sel:BYTE_0
	v_add3_u32 v52, 0, v52, v53
	v_add_f64 v[28:29], v[92:93], v[50:51]
	v_add_f64 v[16:17], v[42:43], v[32:33]
	;; [unrolled: 1-line block ×8, first 2 shown]
	v_add_f64 v[48:49], v[42:43], -v[32:33]
	v_add_f64 v[40:41], v[44:45], -v[40:41]
	v_add_f64 v[44:45], v[76:77], -v[46:47]
	v_add_f64 v[32:33], v[92:93], -v[50:51]
	v_add_f64 v[50:51], v[94:95], -v[54:55]
	v_add_f64 v[42:43], v[96:97], -v[56:57]
	v_add_f64 v[46:47], v[98:99], -v[58:59]
	v_add_f64 v[34:35], v[70:71], -v[60:61]
	ds_write_b128 v52, v[12:15]
	ds_write_b128 v52, v[36:39] offset:1040
	ds_write_b128 v52, v[16:19] offset:208
	;; [unrolled: 1-line block ×9, first 2 shown]
	s_waitcnt lgkmcnt(0)
	s_barrier
	buffer_gl0_inv
	s_and_saveexec_b32 s1, s0
	s_cbranch_execz .LBB0_17
; %bb.16:
	ds_read_b128 v[12:15], v190
	ds_read_b128 v[16:19], v190 offset:2080
	ds_read_b128 v[20:23], v190 offset:4160
	;; [unrolled: 1-line block ×12, first 2 shown]
.LBB0_17:
	s_or_b32 exec_lo, exec_lo, s1
	s_waitcnt lgkmcnt(0)
	s_barrier
	buffer_gl0_inv
	s_and_saveexec_b32 s33, s0
	s_cbranch_execz .LBB0_19
; %bb.18:
	v_add_nc_u32_e32 v52, 0xffffff7e, v66
	v_mov_b32_e32 v53, 0
	s_mov_b32 s6, 0xebaa3ed8
	s_mov_b32 s14, 0x1ea71119
	;; [unrolled: 1-line block ×3, first 2 shown]
	v_cndmask_b32_e64 v52, v52, v66, s0
	s_mov_b32 s38, 0xe00740e9
	s_mov_b32 s16, 0x93053d00
	;; [unrolled: 1-line block ×4, first 2 shown]
	v_mul_i32_i24_e32 v52, 12, v52
	s_mov_b32 s5, 0xbfe7f3cc
	s_mov_b32 s39, 0x3fec55a7
	;; [unrolled: 1-line block ×4, first 2 shown]
	v_lshlrev_b64 v[52:53], 4, v[52:53]
	s_mov_b32 s8, 0x2ef20147
	s_mov_b32 s28, 0x42a4c3d2
	;; [unrolled: 1-line block ×5, first 2 shown]
	v_add_co_u32 v86, s0, s12, v52
	v_add_co_ci_u32_e64 v87, s0, s13, v53, s0
	s_mov_b32 s27, 0xbfefc445
	s_mov_b32 s9, 0x3fedeba7
	;; [unrolled: 1-line block ×3, first 2 shown]
	s_clause 0x1
	global_load_dwordx4 v[54:57], v[86:87], off offset:1952
	global_load_dwordx4 v[58:61], v[86:87], off offset:1936
	s_mov_b32 s19, 0x3fe5384d
	s_mov_b32 s43, 0xbfddbe06
	;; [unrolled: 1-line block ×15, first 2 shown]
	s_waitcnt vmcnt(1)
	v_mul_f64 v[52:53], v[48:49], v[56:57]
	v_fma_f64 v[52:53], v[50:51], v[54:55], v[52:53]
	v_mul_f64 v[50:51], v[50:51], v[56:57]
	v_fma_f64 v[48:49], v[48:49], v[54:55], -v[50:51]
	s_clause 0x1
	global_load_dwordx4 v[54:57], v[86:87], off offset:1968
	global_load_dwordx4 v[70:73], v[86:87], off offset:1984
	s_waitcnt vmcnt(1)
	v_mul_f64 v[50:51], v[40:41], v[56:57]
	v_fma_f64 v[50:51], v[42:43], v[54:55], v[50:51]
	v_mul_f64 v[42:43], v[42:43], v[56:57]
	v_add_f64 v[156:157], v[52:53], v[50:51]
	v_fma_f64 v[40:41], v[40:41], v[54:55], -v[42:43]
	v_mul_f64 v[42:43], v[36:37], v[60:61]
	v_add_f64 v[160:161], v[52:53], -v[50:51]
	v_mul_f64 v[158:159], v[156:157], s[6:7]
	v_add_f64 v[108:109], v[48:49], v[40:41]
	v_fma_f64 v[62:63], v[38:39], v[58:59], v[42:43]
	v_mul_f64 v[38:39], v[38:39], v[60:61]
	v_mul_f64 v[162:163], v[160:161], s[22:23]
	v_fma_f64 v[56:57], v[36:37], v[58:59], -v[38:39]
	s_waitcnt vmcnt(0)
	v_mul_f64 v[36:37], v[44:45], v[72:73]
	v_fma_f64 v[38:39], v[46:47], v[70:71], v[36:37]
	v_mul_f64 v[36:37], v[46:47], v[72:73]
	v_add_f64 v[152:153], v[62:63], v[38:39]
	v_fma_f64 v[36:37], v[44:45], v[70:71], -v[36:37]
	s_clause 0x1
	global_load_dwordx4 v[42:45], v[86:87], off offset:1920
	global_load_dwordx4 v[58:61], v[86:87], off offset:1904
	v_add_f64 v[154:155], v[62:63], -v[38:39]
	s_waitcnt vmcnt(1)
	v_mul_f64 v[46:47], v[28:29], v[44:45]
	v_fma_f64 v[74:75], v[30:31], v[42:43], v[46:47]
	v_mul_f64 v[30:31], v[30:31], v[44:45]
	v_fma_f64 v[76:77], v[28:29], v[42:43], -v[30:31]
	s_clause 0x1
	global_load_dwordx4 v[28:31], v[86:87], off offset:2000
	global_load_dwordx4 v[70:73], v[86:87], off offset:2016
	s_waitcnt vmcnt(1)
	v_mul_f64 v[42:43], v[32:33], v[30:31]
	v_mul_f64 v[30:31], v[34:35], v[30:31]
	v_fma_f64 v[54:55], v[34:35], v[28:29], v[42:43]
	v_fma_f64 v[44:45], v[32:33], v[28:29], -v[30:31]
	v_mul_f64 v[28:29], v[24:25], v[60:61]
	v_add_f64 v[148:149], v[74:75], v[54:55]
	v_add_f64 v[150:151], v[74:75], -v[54:55]
	v_fma_f64 v[78:79], v[26:27], v[58:59], v[28:29]
	v_mul_f64 v[26:27], v[26:27], v[60:61]
	v_fma_f64 v[80:81], v[24:25], v[58:59], -v[26:27]
	s_waitcnt vmcnt(0)
	v_mul_f64 v[24:25], v[8:9], v[72:73]
	v_fma_f64 v[46:47], v[10:11], v[70:71], v[24:25]
	v_mul_f64 v[10:11], v[10:11], v[72:73]
	v_add_f64 v[144:145], v[78:79], v[46:47]
	v_fma_f64 v[42:43], v[8:9], v[70:71], -v[10:11]
	s_clause 0x1
	global_load_dwordx4 v[8:11], v[86:87], off offset:1888
	global_load_dwordx4 v[24:27], v[86:87], off offset:1872
	v_add_f64 v[146:147], v[78:79], -v[46:47]
	s_waitcnt vmcnt(1)
	v_mul_f64 v[28:29], v[20:21], v[10:11]
	v_mul_f64 v[10:11], v[22:23], v[10:11]
	v_fma_f64 v[84:85], v[22:23], v[8:9], v[28:29]
	v_fma_f64 v[82:83], v[20:21], v[8:9], -v[10:11]
	v_add_co_u32 v20, s0, 0x7d0, v86
	v_add_co_ci_u32_e64 v21, s0, 0, v87, s0
	s_clause 0x1
	global_load_dwordx4 v[8:11], v[86:87], off offset:2032
	global_load_dwordx4 v[20:23], v[20:21], off offset:48
	s_mov_b32 s0, 0xb2365da1
	s_mov_b32 s1, 0xbfd6b1d8
	s_waitcnt vmcnt(1)
	v_mul_f64 v[28:29], v[0:1], v[10:11]
	v_fma_f64 v[72:73], v[2:3], v[8:9], v[28:29]
	v_mul_f64 v[2:3], v[2:3], v[10:11]
	v_add_f64 v[140:141], v[84:85], v[72:73]
	v_fma_f64 v[60:61], v[0:1], v[8:9], -v[2:3]
	v_mul_f64 v[0:1], v[16:17], v[26:27]
	s_waitcnt vmcnt(0)
	v_mul_f64 v[8:9], v[4:5], v[22:23]
	v_add_f64 v[142:143], v[84:85], -v[72:73]
	v_fma_f64 v[2:3], v[18:19], v[24:25], v[0:1]
	v_mul_f64 v[0:1], v[18:19], v[26:27]
	v_fma_f64 v[70:71], v[6:7], v[20:21], v[8:9]
	v_mul_f64 v[6:7], v[6:7], v[22:23]
	v_add_f64 v[120:121], v[14:15], v[2:3]
	v_fma_f64 v[0:1], v[16:17], v[24:25], -v[0:1]
	v_fma_f64 v[58:59], v[4:5], v[20:21], -v[6:7]
	v_add_f64 v[4:5], v[2:3], v[70:71]
	v_add_f64 v[84:85], v[120:121], v[84:85]
	;; [unrolled: 1-line block ×3, first 2 shown]
	v_add_f64 v[20:21], v[0:1], -v[58:59]
	v_mul_f64 v[6:7], v[4:5], s[16:17]
	v_mul_f64 v[8:9], v[4:5], s[4:5]
	;; [unrolled: 1-line block ×6, first 2 shown]
	v_add_f64 v[94:95], v[0:1], v[58:59]
	v_add_f64 v[78:79], v[84:85], v[78:79]
	v_fma_f64 v[22:23], v[20:21], s[20:21], v[6:7]
	v_fma_f64 v[6:7], v[20:21], s[30:31], v[6:7]
	;; [unrolled: 1-line block ×12, first 2 shown]
	v_add_f64 v[20:21], v[2:3], -v[70:71]
	v_add_f64 v[74:75], v[78:79], v[74:75]
	v_add_f64 v[0:1], v[14:15], v[22:23]
	;; [unrolled: 1-line block ×12, first 2 shown]
	v_mul_f64 v[90:91], v[20:21], s[26:27]
	v_mul_f64 v[92:93], v[20:21], s[28:29]
	;; [unrolled: 1-line block ×7, first 2 shown]
	v_add_f64 v[62:63], v[74:75], v[62:63]
	v_fma_f64 v[102:103], v[94:95], s[6:7], v[90:91]
	v_fma_f64 v[90:91], v[94:95], s[6:7], -v[90:91]
	v_fma_f64 v[104:105], v[94:95], s[14:15], v[92:93]
	v_fma_f64 v[92:93], v[94:95], s[14:15], -v[92:93]
	;; [unrolled: 2-line block ×6, first 2 shown]
	v_add_f64 v[94:95], v[80:81], -v[42:43]
	v_add_f64 v[52:53], v[62:63], v[52:53]
	v_add_f64 v[124:125], v[12:13], v[102:103]
	;; [unrolled: 1-line block ×3, first 2 shown]
	v_add_f64 v[90:91], v[82:83], -v[60:61]
	v_add_f64 v[134:135], v[12:13], v[92:93]
	v_add_f64 v[92:93], v[82:83], v[60:61]
	;; [unrolled: 1-line block ×13, first 2 shown]
	v_add_f64 v[98:99], v[76:77], -v[44:45]
	v_add_f64 v[100:101], v[76:77], v[44:45]
	v_add_f64 v[102:103], v[56:57], -v[36:37]
	v_add_f64 v[104:105], v[56:57], v[36:37]
	;; [unrolled: 2-line block ×3, first 2 shown]
	v_add_f64 v[50:51], v[52:53], v[50:51]
	v_fma_f64 v[8:9], v[90:91], s[42:43], v[4:5]
	v_fma_f64 v[4:5], v[90:91], s[40:41], v[4:5]
	v_add_f64 v[80:81], v[82:83], v[80:81]
	v_add_f64 v[38:39], v[50:51], v[38:39]
	;; [unrolled: 1-line block ×3, first 2 shown]
	v_mul_f64 v[8:9], v[142:143], s[40:41]
	v_add_f64 v[4:5], v[4:5], v[6:7]
	v_add_f64 v[76:77], v[80:81], v[76:77]
	;; [unrolled: 1-line block ×3, first 2 shown]
	v_fma_f64 v[10:11], v[92:93], s[38:39], v[8:9]
	v_fma_f64 v[6:7], v[92:93], s[38:39], -v[8:9]
	v_add_f64 v[56:57], v[76:77], v[56:57]
	v_add_f64 v[38:39], v[38:39], v[46:47]
	;; [unrolled: 1-line block ×3, first 2 shown]
	v_mul_f64 v[10:11], v[144:145], s[4:5]
	v_add_f64 v[6:7], v[6:7], v[22:23]
	v_add_f64 v[48:49], v[56:57], v[48:49]
	;; [unrolled: 1-line block ×3, first 2 shown]
	v_fma_f64 v[12:13], v[94:95], s[18:19], v[10:11]
	v_fma_f64 v[8:9], v[94:95], s[34:35], v[10:11]
	v_fma_f64 v[10:11], v[108:109], s[6:7], -v[162:163]
	v_add_f64 v[40:41], v[48:49], v[40:41]
	v_add_f64 v[38:39], v[38:39], v[70:71]
	;; [unrolled: 1-line block ×3, first 2 shown]
	v_mul_f64 v[12:13], v[146:147], s[34:35]
	v_add_f64 v[4:5], v[8:9], v[4:5]
	v_add_f64 v[36:37], v[40:41], v[36:37]
	v_fma_f64 v[14:15], v[96:97], s[4:5], v[12:13]
	v_fma_f64 v[8:9], v[96:97], s[4:5], -v[12:13]
	v_mul_f64 v[12:13], v[140:141], s[6:7]
	v_add_f64 v[36:37], v[36:37], v[44:45]
	v_add_f64 v[2:3], v[14:15], v[2:3]
	v_mul_f64 v[14:15], v[148:149], s[14:15]
	v_add_f64 v[6:7], v[8:9], v[6:7]
	v_add_f64 v[36:37], v[36:37], v[42:43]
	v_fma_f64 v[16:17], v[98:99], s[28:29], v[14:15]
	v_fma_f64 v[8:9], v[98:99], s[24:25], v[14:15]
	v_mul_f64 v[14:15], v[142:143], s[22:23]
	v_add_f64 v[36:37], v[36:37], v[60:61]
	v_add_f64 v[0:1], v[16:17], v[0:1]
	v_mul_f64 v[16:17], v[150:151], s[24:25]
	v_add_f64 v[4:5], v[8:9], v[4:5]
	v_add_f64 v[36:37], v[36:37], v[58:59]
	v_fma_f64 v[18:19], v[100:101], s[14:15], v[16:17]
	v_fma_f64 v[8:9], v[100:101], s[14:15], -v[16:17]
	v_mul_f64 v[16:17], v[144:145], s[14:15]
	v_add_f64 v[2:3], v[18:19], v[2:3]
	v_mul_f64 v[18:19], v[152:153], s[0:1]
	v_add_f64 v[6:7], v[8:9], v[6:7]
	v_fma_f64 v[20:21], v[102:103], s[8:9], v[18:19]
	v_fma_f64 v[8:9], v[102:103], s[36:37], v[18:19]
	;; [unrolled: 1-line block ×4, first 2 shown]
	v_add_f64 v[0:1], v[20:21], v[0:1]
	v_mul_f64 v[20:21], v[154:155], s[36:37]
	v_add_f64 v[4:5], v[8:9], v[4:5]
	v_fma_f64 v[8:9], v[104:105], s[0:1], -v[20:21]
	v_fma_f64 v[32:33], v[104:105], s[0:1], v[20:21]
	v_add_f64 v[8:9], v[8:9], v[6:7]
	v_fma_f64 v[6:7], v[106:107], s[22:23], v[158:159]
	v_add_f64 v[32:33], v[32:33], v[2:3]
	v_fma_f64 v[2:3], v[106:107], s[26:27], v[158:159]
	v_mul_f64 v[158:159], v[156:157], s[0:1]
	v_add_f64 v[6:7], v[6:7], v[4:5]
	v_add_f64 v[4:5], v[10:11], v[8:9]
	v_fma_f64 v[8:9], v[90:91], s[26:27], v[12:13]
	v_fma_f64 v[10:11], v[92:93], s[6:7], v[14:15]
	;; [unrolled: 1-line block ×3, first 2 shown]
	v_fma_f64 v[14:15], v[92:93], s[6:7], -v[14:15]
	v_add_f64 v[2:3], v[2:3], v[0:1]
	v_fma_f64 v[0:1], v[108:109], s[6:7], v[162:163]
	v_mul_f64 v[162:163], v[160:161], s[36:37]
	v_add_f64 v[8:9], v[8:9], v[24:25]
	v_add_f64 v[10:11], v[10:11], v[34:35]
	;; [unrolled: 1-line block ×6, first 2 shown]
	v_mul_f64 v[18:19], v[146:147], s[28:29]
	v_add_f64 v[12:13], v[16:17], v[12:13]
	v_fma_f64 v[20:21], v[96:97], s[14:15], v[18:19]
	v_fma_f64 v[16:17], v[96:97], s[14:15], -v[18:19]
	v_fma_f64 v[18:19], v[108:109], s[0:1], -v[162:163]
	v_add_f64 v[10:11], v[20:21], v[10:11]
	v_mul_f64 v[20:21], v[148:149], s[16:17]
	v_add_f64 v[14:15], v[16:17], v[14:15]
	v_fma_f64 v[22:23], v[98:99], s[30:31], v[20:21]
	v_fma_f64 v[16:17], v[98:99], s[20:21], v[20:21]
	v_mul_f64 v[20:21], v[140:141], s[4:5]
	v_add_f64 v[8:9], v[22:23], v[8:9]
	v_mul_f64 v[22:23], v[150:151], s[20:21]
	v_add_f64 v[12:13], v[16:17], v[12:13]
	v_fma_f64 v[24:25], v[100:101], s[16:17], v[22:23]
	v_fma_f64 v[16:17], v[100:101], s[16:17], -v[22:23]
	v_mul_f64 v[22:23], v[142:143], s[18:19]
	v_add_f64 v[10:11], v[24:25], v[10:11]
	v_mul_f64 v[24:25], v[152:153], s[38:39]
	v_add_f64 v[14:15], v[16:17], v[14:15]
	v_fma_f64 v[32:33], v[102:103], s[42:43], v[24:25]
	v_fma_f64 v[16:17], v[102:103], s[40:41], v[24:25]
	v_mul_f64 v[24:25], v[144:145], s[38:39]
	v_add_f64 v[8:9], v[32:33], v[8:9]
	v_mul_f64 v[32:33], v[154:155], s[40:41]
	v_add_f64 v[12:13], v[16:17], v[12:13]
	v_fma_f64 v[16:17], v[104:105], s[38:39], -v[32:33]
	v_fma_f64 v[34:35], v[104:105], s[38:39], v[32:33]
	v_add_f64 v[16:17], v[16:17], v[14:15]
	v_fma_f64 v[14:15], v[106:107], s[36:37], v[158:159]
	v_add_f64 v[34:35], v[34:35], v[10:11]
	v_fma_f64 v[10:11], v[106:107], s[8:9], v[158:159]
	v_mul_f64 v[158:159], v[156:157], s[14:15]
	v_add_f64 v[14:15], v[14:15], v[12:13]
	v_add_f64 v[12:13], v[18:19], v[16:17]
	v_fma_f64 v[16:17], v[90:91], s[34:35], v[20:21]
	v_fma_f64 v[18:19], v[92:93], s[4:5], v[22:23]
	v_add_f64 v[10:11], v[10:11], v[8:9]
	v_fma_f64 v[8:9], v[108:109], s[0:1], v[162:163]
	v_fma_f64 v[20:21], v[90:91], s[18:19], v[20:21]
	v_fma_f64 v[22:23], v[92:93], s[4:5], -v[22:23]
	v_mul_f64 v[162:163], v[160:161], s[24:25]
	v_add_f64 v[16:17], v[16:17], v[26:27]
	v_fma_f64 v[26:27], v[94:95], s[42:43], v[24:25]
	v_add_f64 v[18:19], v[18:19], v[116:117]
	v_add_f64 v[8:9], v[8:9], v[34:35]
	;; [unrolled: 1-line block ×3, first 2 shown]
	v_fma_f64 v[24:25], v[94:95], s[40:41], v[24:25]
	v_add_f64 v[22:23], v[22:23], v[122:123]
	v_add_f64 v[16:17], v[26:27], v[16:17]
	v_mul_f64 v[26:27], v[146:147], s[40:41]
	v_add_f64 v[20:21], v[24:25], v[20:21]
	v_fma_f64 v[32:33], v[96:97], s[38:39], v[26:27]
	v_fma_f64 v[24:25], v[96:97], s[38:39], -v[26:27]
	v_add_f64 v[18:19], v[32:33], v[18:19]
	v_mul_f64 v[32:33], v[148:149], s[6:7]
	v_add_f64 v[22:23], v[24:25], v[22:23]
	v_fma_f64 v[34:35], v[98:99], s[22:23], v[32:33]
	v_fma_f64 v[24:25], v[98:99], s[26:27], v[32:33]
	v_fma_f64 v[32:33], v[108:109], s[14:15], -v[162:163]
	v_add_f64 v[16:17], v[34:35], v[16:17]
	v_mul_f64 v[34:35], v[150:151], s[26:27]
	v_add_f64 v[20:21], v[24:25], v[20:21]
	v_fma_f64 v[112:113], v[100:101], s[6:7], v[34:35]
	v_fma_f64 v[24:25], v[100:101], s[6:7], -v[34:35]
	v_mul_f64 v[34:35], v[144:145], s[0:1]
	v_add_f64 v[18:19], v[112:113], v[18:19]
	v_mul_f64 v[112:113], v[152:153], s[16:17]
	v_add_f64 v[22:23], v[24:25], v[22:23]
	v_fma_f64 v[114:115], v[102:103], s[30:31], v[112:113]
	v_fma_f64 v[24:25], v[102:103], s[20:21], v[112:113]
	;; [unrolled: 1-line block ×4, first 2 shown]
	v_add_f64 v[16:17], v[114:115], v[16:17]
	v_mul_f64 v[114:115], v[154:155], s[20:21]
	v_add_f64 v[20:21], v[24:25], v[20:21]
	v_fma_f64 v[24:25], v[104:105], s[16:17], -v[114:115]
	v_fma_f64 v[116:117], v[104:105], s[16:17], v[114:115]
	v_add_f64 v[22:23], v[24:25], v[22:23]
	v_fma_f64 v[24:25], v[106:107], s[24:25], v[158:159]
	v_add_f64 v[116:117], v[116:117], v[18:19]
	v_fma_f64 v[18:19], v[106:107], s[28:29], v[158:159]
	v_mul_f64 v[158:159], v[156:157], s[4:5]
	v_add_f64 v[26:27], v[24:25], v[20:21]
	v_add_f64 v[24:25], v[32:33], v[22:23]
	v_mul_f64 v[32:33], v[140:141], s[16:17]
	v_add_f64 v[18:19], v[18:19], v[16:17]
	v_fma_f64 v[16:17], v[108:109], s[14:15], v[162:163]
	v_mul_f64 v[162:163], v[160:161], s[34:35]
	v_fma_f64 v[20:21], v[90:91], s[20:21], v[32:33]
	v_fma_f64 v[32:33], v[90:91], s[30:31], v[32:33]
	v_add_f64 v[16:17], v[16:17], v[116:117]
	v_add_f64 v[20:21], v[20:21], v[28:29]
	v_mul_f64 v[28:29], v[142:143], s[30:31]
	v_add_f64 v[32:33], v[32:33], v[126:127]
	v_add_f64 v[20:21], v[112:113], v[20:21]
	v_fma_f64 v[22:23], v[92:93], s[16:17], v[28:29]
	v_mul_f64 v[112:113], v[146:147], s[8:9]
	v_fma_f64 v[28:29], v[92:93], s[16:17], -v[28:29]
	v_add_f64 v[32:33], v[34:35], v[32:33]
	v_add_f64 v[22:23], v[22:23], v[124:125]
	v_fma_f64 v[114:115], v[96:97], s[0:1], v[112:113]
	v_add_f64 v[28:29], v[28:29], v[128:129]
	v_fma_f64 v[34:35], v[96:97], s[0:1], -v[112:113]
	v_fma_f64 v[112:113], v[108:109], s[4:5], -v[162:163]
	v_add_f64 v[22:23], v[114:115], v[22:23]
	v_mul_f64 v[114:115], v[148:149], s[38:39]
	v_add_f64 v[28:29], v[34:35], v[28:29]
	v_fma_f64 v[116:117], v[98:99], s[42:43], v[114:115]
	v_fma_f64 v[34:35], v[98:99], s[40:41], v[114:115]
	v_mul_f64 v[114:115], v[142:143], s[36:37]
	v_add_f64 v[20:21], v[116:117], v[20:21]
	v_mul_f64 v[116:117], v[150:151], s[40:41]
	v_add_f64 v[32:33], v[34:35], v[32:33]
	v_fma_f64 v[118:119], v[100:101], s[38:39], v[116:117]
	v_fma_f64 v[34:35], v[100:101], s[38:39], -v[116:117]
	v_mul_f64 v[116:117], v[144:145], s[16:17]
	v_add_f64 v[22:23], v[118:119], v[22:23]
	v_mul_f64 v[118:119], v[152:153], s[14:15]
	v_add_f64 v[28:29], v[34:35], v[28:29]
	v_fma_f64 v[122:123], v[102:103], s[24:25], v[118:119]
	v_fma_f64 v[34:35], v[102:103], s[28:29], v[118:119]
	;; [unrolled: 1-line block ×4, first 2 shown]
	v_add_f64 v[20:21], v[122:123], v[20:21]
	v_mul_f64 v[122:123], v[154:155], s[28:29]
	v_add_f64 v[32:33], v[34:35], v[32:33]
	v_fma_f64 v[34:35], v[104:105], s[14:15], -v[122:123]
	v_fma_f64 v[124:125], v[104:105], s[14:15], v[122:123]
	v_add_f64 v[28:29], v[34:35], v[28:29]
	v_fma_f64 v[34:35], v[106:107], s[34:35], v[158:159]
	v_add_f64 v[124:125], v[124:125], v[22:23]
	v_fma_f64 v[22:23], v[106:107], s[18:19], v[158:159]
	v_mul_f64 v[158:159], v[156:157], s[38:39]
	v_add_f64 v[34:35], v[34:35], v[32:33]
	v_add_f64 v[32:33], v[112:113], v[28:29]
	v_mul_f64 v[112:113], v[140:141], s[0:1]
	v_add_f64 v[22:23], v[22:23], v[20:21]
	v_fma_f64 v[20:21], v[108:109], s[4:5], v[162:163]
	v_mul_f64 v[162:163], v[160:161], s[40:41]
	v_fma_f64 v[28:29], v[90:91], s[8:9], v[112:113]
	v_fma_f64 v[112:113], v[90:91], s[36:37], v[112:113]
	v_add_f64 v[20:21], v[20:21], v[124:125]
	v_add_f64 v[28:29], v[28:29], v[30:31]
	v_fma_f64 v[30:31], v[92:93], s[0:1], v[114:115]
	v_add_f64 v[112:113], v[112:113], v[132:133]
	v_fma_f64 v[114:115], v[92:93], s[0:1], -v[114:115]
	v_add_f64 v[28:29], v[118:119], v[28:29]
	v_mul_f64 v[118:119], v[146:147], s[30:31]
	v_add_f64 v[30:31], v[30:31], v[130:131]
	v_add_f64 v[114:115], v[114:115], v[134:135]
	;; [unrolled: 1-line block ×3, first 2 shown]
	v_fma_f64 v[122:123], v[96:97], s[16:17], v[118:119]
	v_fma_f64 v[116:117], v[96:97], s[16:17], -v[118:119]
	v_fma_f64 v[118:119], v[108:109], s[38:39], -v[162:163]
	v_add_f64 v[30:31], v[122:123], v[30:31]
	v_mul_f64 v[122:123], v[148:149], s[4:5]
	v_add_f64 v[114:115], v[116:117], v[114:115]
	v_fma_f64 v[124:125], v[98:99], s[34:35], v[122:123]
	v_fma_f64 v[116:117], v[98:99], s[18:19], v[122:123]
	v_mul_f64 v[122:123], v[140:141], s[14:15]
	v_mul_f64 v[140:141], v[156:157], s[16:17]
	v_add_f64 v[28:29], v[124:125], v[28:29]
	v_mul_f64 v[124:125], v[150:151], s[18:19]
	v_add_f64 v[112:113], v[116:117], v[112:113]
	v_fma_f64 v[40:41], v[90:91], s[24:25], v[122:123]
	v_fma_f64 v[126:127], v[100:101], s[4:5], v[124:125]
	v_fma_f64 v[116:117], v[100:101], s[4:5], -v[124:125]
	v_mul_f64 v[124:125], v[142:143], s[28:29]
	v_add_f64 v[40:41], v[40:41], v[86:87]
	v_mul_f64 v[142:143], v[160:161], s[30:31]
	v_add_f64 v[30:31], v[126:127], v[30:31]
	;; [unrolled: 2-line block ×3, first 2 shown]
	v_fma_f64 v[42:43], v[92:93], s[14:15], v[124:125]
	v_fma_f64 v[128:129], v[102:103], s[26:27], v[126:127]
	;; [unrolled: 1-line block ×3, first 2 shown]
	v_mul_f64 v[126:127], v[144:145], s[6:7]
	v_add_f64 v[42:43], v[42:43], v[88:89]
	v_add_f64 v[28:29], v[128:129], v[28:29]
	v_mul_f64 v[128:129], v[154:155], s[22:23]
	v_add_f64 v[112:113], v[116:117], v[112:113]
	v_fma_f64 v[44:45], v[94:95], s[22:23], v[126:127]
	v_fma_f64 v[116:117], v[104:105], s[6:7], -v[128:129]
	v_fma_f64 v[130:131], v[104:105], s[6:7], v[128:129]
	v_fma_f64 v[128:129], v[94:95], s[26:27], v[126:127]
	v_add_f64 v[40:41], v[44:45], v[40:41]
	v_add_f64 v[116:117], v[116:117], v[114:115]
	v_fma_f64 v[114:115], v[106:107], s[40:41], v[158:159]
	v_add_f64 v[130:131], v[130:131], v[30:31]
	v_fma_f64 v[30:31], v[106:107], s[42:43], v[158:159]
	v_add_f64 v[114:115], v[114:115], v[112:113]
	v_add_f64 v[112:113], v[118:119], v[116:117]
	v_fma_f64 v[116:117], v[90:91], s[28:29], v[122:123]
	v_add_f64 v[30:31], v[30:31], v[28:29]
	v_fma_f64 v[28:29], v[108:109], s[38:39], v[162:163]
	v_fma_f64 v[118:119], v[92:93], s[14:15], -v[124:125]
	v_add_f64 v[116:117], v[116:117], v[136:137]
	v_add_f64 v[28:29], v[28:29], v[130:131]
	;; [unrolled: 1-line block ×4, first 2 shown]
	v_mul_f64 v[128:129], v[146:147], s[26:27]
	v_fma_f64 v[130:131], v[96:97], s[6:7], -v[128:129]
	v_fma_f64 v[46:47], v[96:97], s[6:7], v[128:129]
	v_add_f64 v[118:119], v[130:131], v[118:119]
	v_mul_f64 v[130:131], v[148:149], s[0:1]
	v_add_f64 v[42:43], v[46:47], v[42:43]
	v_fma_f64 v[132:133], v[98:99], s[36:37], v[130:131]
	v_fma_f64 v[48:49], v[98:99], s[8:9], v[130:131]
	v_add_f64 v[116:117], v[132:133], v[116:117]
	v_mul_f64 v[132:133], v[150:151], s[36:37]
	v_add_f64 v[40:41], v[48:49], v[40:41]
	v_fma_f64 v[48:49], v[106:107], s[20:21], v[140:141]
	v_fma_f64 v[134:135], v[100:101], s[0:1], -v[132:133]
	v_fma_f64 v[50:51], v[100:101], s[0:1], v[132:133]
	v_add_f64 v[118:119], v[134:135], v[118:119]
	v_mul_f64 v[134:135], v[152:153], s[4:5]
	v_add_f64 v[42:43], v[50:51], v[42:43]
	v_fma_f64 v[50:51], v[108:109], s[16:17], v[142:143]
	v_fma_f64 v[136:137], v[102:103], s[34:35], v[134:135]
	;; [unrolled: 1-line block ×3, first 2 shown]
	v_add_f64 v[116:117], v[136:137], v[116:117]
	v_mul_f64 v[136:137], v[154:155], s[34:35]
	v_add_f64 v[40:41], v[44:45], v[40:41]
	v_fma_f64 v[138:139], v[104:105], s[4:5], -v[136:137]
	v_fma_f64 v[46:47], v[104:105], s[4:5], v[136:137]
	v_add_f64 v[138:139], v[138:139], v[118:119]
	v_fma_f64 v[118:119], v[106:107], s[30:31], v[140:141]
	v_add_f64 v[44:45], v[46:47], v[42:43]
	v_add_f64 v[42:43], v[48:49], v[40:41]
	v_add_f64 v[118:119], v[118:119], v[116:117]
	v_fma_f64 v[116:117], v[108:109], s[16:17], -v[142:143]
	v_add_f64 v[40:41], v[50:51], v[44:45]
	v_add_f64 v[116:117], v[116:117], v[138:139]
	ds_write_b128 v190, v[116:119] offset:2080
	ds_write_b128 v190, v[112:115] offset:4160
	;; [unrolled: 1-line block ×11, first 2 shown]
	ds_write_b128 v190, v[36:39]
	ds_write_b128 v190, v[40:43] offset:24960
.LBB0_19:
	s_or_b32 exec_lo, exec_lo, s33
	s_waitcnt lgkmcnt(0)
	s_barrier
	buffer_gl0_inv
	ds_read_b128 v[4:7], v190
	v_lshlrev_b32_e32 v0, 4, v66
	s_add_u32 s1, s12, 0x68d0
	s_addc_u32 s4, s13, 0
	s_mov_b32 s5, exec_lo
                                        ; implicit-def: $vgpr8_vgpr9
                                        ; implicit-def: $vgpr10_vgpr11
	v_sub_nc_u32_e32 v12, 0, v0
                                        ; implicit-def: $vgpr0_vgpr1
	v_cmpx_ne_u32_e32 0, v66
	s_xor_b32 s5, exec_lo, s5
	s_cbranch_execz .LBB0_21
; %bb.20:
	v_mov_b32_e32 v67, 0
	v_lshlrev_b64 v[0:1], 4, v[66:67]
	v_add_co_u32 v0, s0, s1, v0
	v_add_co_ci_u32_e64 v1, s0, s4, v1, s0
	global_load_dwordx4 v[13:16], v[0:1], off
	ds_read_b128 v[0:3], v12 offset:27040
	s_waitcnt lgkmcnt(0)
	v_add_f64 v[8:9], v[4:5], -v[0:1]
	v_add_f64 v[10:11], v[6:7], v[2:3]
	v_add_f64 v[2:3], v[6:7], -v[2:3]
	v_add_f64 v[0:1], v[4:5], v[0:1]
	v_mul_f64 v[6:7], v[8:9], 0.5
	v_mul_f64 v[4:5], v[10:11], 0.5
	;; [unrolled: 1-line block ×3, first 2 shown]
	s_waitcnt vmcnt(0)
	v_mul_f64 v[8:9], v[6:7], v[15:16]
	v_fma_f64 v[10:11], v[4:5], v[15:16], v[2:3]
	v_fma_f64 v[2:3], v[4:5], v[15:16], -v[2:3]
	v_fma_f64 v[17:18], v[0:1], 0.5, v[8:9]
	v_fma_f64 v[0:1], v[0:1], 0.5, -v[8:9]
	v_fma_f64 v[10:11], -v[13:14], v[6:7], v[10:11]
	v_fma_f64 v[2:3], -v[13:14], v[6:7], v[2:3]
	v_fma_f64 v[8:9], v[4:5], v[13:14], v[17:18]
	v_fma_f64 v[0:1], -v[4:5], v[13:14], v[0:1]
                                        ; implicit-def: $vgpr4_vgpr5
.LBB0_21:
	s_andn2_saveexec_b32 s0, s5
	s_cbranch_execz .LBB0_23
; %bb.22:
	v_mov_b32_e32 v15, 0
	s_waitcnt lgkmcnt(0)
	v_add_f64 v[8:9], v[4:5], v[6:7]
	v_add_f64 v[0:1], v[4:5], -v[6:7]
	v_mov_b32_e32 v10, 0
	v_mov_b32_e32 v11, 0
	ds_read_b64 v[13:14], v15 offset:13528
	v_mov_b32_e32 v2, v10
	v_mov_b32_e32 v3, v11
	s_waitcnt lgkmcnt(0)
	v_xor_b32_e32 v14, 0x80000000, v14
	ds_write_b64 v15, v[13:14] offset:13528
.LBB0_23:
	s_or_b32 exec_lo, exec_lo, s0
	s_waitcnt lgkmcnt(0)
	v_add_nc_u32_e32 v4, 0xa9, v66
	v_mov_b32_e32 v5, 0
	ds_write2_b64 v190, v[8:9], v[10:11] offset1:1
	ds_write_b128 v12, v[0:3] offset:27040
	v_lshlrev_b64 v[6:7], 4, v[4:5]
	v_add_nc_u32_e32 v4, 0x152, v66
	v_add_co_u32 v6, s0, s1, v6
	v_add_co_ci_u32_e64 v7, s0, s4, v7, s0
	global_load_dwordx4 v[13:16], v[6:7], off
	v_lshlrev_b64 v[6:7], 4, v[4:5]
	v_add_nc_u32_e32 v4, 0x1fb, v66
	v_lshlrev_b64 v[10:11], 4, v[4:5]
	v_add_co_u32 v6, s0, s1, v6
	v_add_co_ci_u32_e64 v7, s0, s4, v7, s0
	v_add_nc_u32_e32 v4, 0x2a4, v66
	v_add_co_u32 v10, s0, s1, v10
	global_load_dwordx4 v[17:20], v[6:7], off
	ds_read_b128 v[0:3], v190 offset:2704
	ds_read_b128 v[6:9], v12 offset:24336
	v_add_co_ci_u32_e64 v11, s0, s4, v11, s0
	global_load_dwordx4 v[21:24], v[10:11], off
	s_waitcnt lgkmcnt(0)
	v_add_f64 v[10:11], v[0:1], -v[6:7]
	v_add_f64 v[25:26], v[2:3], v[8:9]
	v_add_f64 v[2:3], v[2:3], -v[8:9]
	v_add_f64 v[0:1], v[0:1], v[6:7]
	v_mul_f64 v[8:9], v[10:11], 0.5
	v_mul_f64 v[10:11], v[25:26], 0.5
	;; [unrolled: 1-line block ×3, first 2 shown]
	s_waitcnt vmcnt(2)
	v_mul_f64 v[6:7], v[8:9], v[15:16]
	v_fma_f64 v[25:26], v[10:11], v[15:16], v[2:3]
	v_fma_f64 v[2:3], v[10:11], v[15:16], -v[2:3]
	v_fma_f64 v[15:16], v[0:1], 0.5, v[6:7]
	v_fma_f64 v[0:1], v[0:1], 0.5, -v[6:7]
	v_fma_f64 v[6:7], -v[13:14], v[8:9], v[25:26]
	v_fma_f64 v[2:3], -v[13:14], v[8:9], v[2:3]
	v_fma_f64 v[8:9], v[10:11], v[13:14], v[15:16]
	v_fma_f64 v[0:1], -v[10:11], v[13:14], v[0:1]
	v_lshlrev_b64 v[10:11], 4, v[4:5]
	v_add_nc_u32_e32 v13, 0x800, v190
	v_add_nc_u32_e32 v4, 0x1000, v190
	ds_write2_b64 v13, v[8:9], v[6:7] offset0:82 offset1:83
	ds_write_b128 v12, v[0:3] offset:24336
	v_add_co_u32 v10, s0, s1, v10
	ds_read_b128 v[0:3], v190 offset:5408
	ds_read_b128 v[6:9], v12 offset:21632
	v_add_co_ci_u32_e64 v11, s0, s4, v11, s0
	global_load_dwordx4 v[13:16], v[10:11], off
	s_waitcnt lgkmcnt(0)
	v_add_f64 v[10:11], v[0:1], -v[6:7]
	v_add_f64 v[25:26], v[2:3], v[8:9]
	v_add_f64 v[2:3], v[2:3], -v[8:9]
	v_add_f64 v[0:1], v[0:1], v[6:7]
	v_mul_f64 v[8:9], v[10:11], 0.5
	v_mul_f64 v[10:11], v[25:26], 0.5
	;; [unrolled: 1-line block ×3, first 2 shown]
	s_waitcnt vmcnt(2)
	v_mul_f64 v[6:7], v[8:9], v[19:20]
	v_fma_f64 v[25:26], v[10:11], v[19:20], v[2:3]
	v_fma_f64 v[2:3], v[10:11], v[19:20], -v[2:3]
	v_fma_f64 v[19:20], v[0:1], 0.5, v[6:7]
	v_fma_f64 v[0:1], v[0:1], 0.5, -v[6:7]
	v_fma_f64 v[6:7], -v[17:18], v[8:9], v[25:26]
	v_fma_f64 v[2:3], -v[17:18], v[8:9], v[2:3]
	v_fma_f64 v[8:9], v[10:11], v[17:18], v[19:20]
	v_fma_f64 v[0:1], -v[10:11], v[17:18], v[0:1]
	ds_write2_b64 v4, v[8:9], v[6:7] offset0:164 offset1:165
	ds_write_b128 v12, v[0:3] offset:21632
	ds_read_b128 v[0:3], v190 offset:8112
	ds_read_b128 v[6:9], v12 offset:18928
	v_add_nc_u32_e32 v4, 0x1800, v190
	s_waitcnt lgkmcnt(0)
	v_add_f64 v[10:11], v[0:1], -v[6:7]
	v_add_f64 v[17:18], v[2:3], v[8:9]
	v_add_f64 v[2:3], v[2:3], -v[8:9]
	v_add_f64 v[0:1], v[0:1], v[6:7]
	v_mul_f64 v[8:9], v[10:11], 0.5
	v_mul_f64 v[10:11], v[17:18], 0.5
	;; [unrolled: 1-line block ×3, first 2 shown]
	s_waitcnt vmcnt(1)
	v_mul_f64 v[6:7], v[8:9], v[23:24]
	v_fma_f64 v[17:18], v[10:11], v[23:24], v[2:3]
	v_fma_f64 v[2:3], v[10:11], v[23:24], -v[2:3]
	v_fma_f64 v[19:20], v[0:1], 0.5, v[6:7]
	v_fma_f64 v[0:1], v[0:1], 0.5, -v[6:7]
	v_fma_f64 v[6:7], -v[21:22], v[8:9], v[17:18]
	v_fma_f64 v[2:3], -v[21:22], v[8:9], v[2:3]
	v_fma_f64 v[8:9], v[10:11], v[21:22], v[19:20]
	v_fma_f64 v[0:1], -v[10:11], v[21:22], v[0:1]
	ds_write2_b64 v4, v[8:9], v[6:7] offset0:246 offset1:247
	ds_write_b128 v12, v[0:3] offset:18928
	ds_read_b128 v[0:3], v190 offset:10816
	ds_read_b128 v[6:9], v12 offset:16224
	v_add_nc_u32_e32 v4, 0x2800, v190
	s_waitcnt lgkmcnt(0)
	v_add_f64 v[10:11], v[0:1], -v[6:7]
	v_add_f64 v[17:18], v[2:3], v[8:9]
	v_add_f64 v[2:3], v[2:3], -v[8:9]
	v_add_f64 v[0:1], v[0:1], v[6:7]
	v_mul_f64 v[8:9], v[10:11], 0.5
	v_mul_f64 v[10:11], v[17:18], 0.5
	;; [unrolled: 1-line block ×3, first 2 shown]
	s_waitcnt vmcnt(0)
	v_mul_f64 v[6:7], v[8:9], v[15:16]
	v_fma_f64 v[17:18], v[10:11], v[15:16], v[2:3]
	v_fma_f64 v[2:3], v[10:11], v[15:16], -v[2:3]
	v_fma_f64 v[15:16], v[0:1], 0.5, v[6:7]
	v_fma_f64 v[0:1], v[0:1], 0.5, -v[6:7]
	v_fma_f64 v[6:7], -v[13:14], v[8:9], v[17:18]
	v_fma_f64 v[2:3], -v[13:14], v[8:9], v[2:3]
	v_fma_f64 v[8:9], v[10:11], v[13:14], v[15:16]
	v_fma_f64 v[0:1], -v[10:11], v[13:14], v[0:1]
	ds_write2_b64 v4, v[8:9], v[6:7] offset0:72 offset1:73
	ds_write_b128 v12, v[0:3] offset:16224
	s_waitcnt lgkmcnt(0)
	s_barrier
	buffer_gl0_inv
	s_and_saveexec_b32 s0, vcc_lo
	s_cbranch_execz .LBB0_26
; %bb.24:
	v_mul_lo_u32 v2, s3, v68
	v_mul_lo_u32 v3, s2, v69
	v_mad_u64_u32 v[0:1], null, s2, v68, 0
	v_lshl_add_u32 v28, v66, 4, 0
	v_mov_b32_e32 v67, v5
	ds_read_b128 v[6:9], v28
	ds_read_b128 v[10:13], v28 offset:2704
	v_add3_u32 v1, v1, v3, v2
	v_lshlrev_b64 v[2:3], 4, v[64:65]
	v_add_nc_u32_e32 v4, 0xa9, v66
	v_lshlrev_b64 v[14:15], 4, v[66:67]
	v_lshlrev_b64 v[0:1], 4, v[0:1]
	;; [unrolled: 1-line block ×3, first 2 shown]
	v_add_nc_u32_e32 v4, 0x152, v66
	v_add_co_u32 v0, vcc_lo, s10, v0
	v_add_co_ci_u32_e32 v1, vcc_lo, s11, v1, vcc_lo
	v_add_co_u32 v0, vcc_lo, v0, v2
	v_add_co_ci_u32_e32 v1, vcc_lo, v1, v3, vcc_lo
	v_add_co_u32 v2, vcc_lo, v0, v14
	v_add_co_ci_u32_e32 v3, vcc_lo, v1, v15, vcc_lo
	v_add_co_u32 v14, vcc_lo, v0, v16
	v_add_co_ci_u32_e32 v15, vcc_lo, v1, v17, vcc_lo
	v_lshlrev_b64 v[16:17], 4, v[4:5]
	v_add_nc_u32_e32 v4, 0x1fb, v66
	s_waitcnt lgkmcnt(1)
	global_store_dwordx4 v[2:3], v[6:9], off
	s_waitcnt lgkmcnt(0)
	global_store_dwordx4 v[14:15], v[10:13], off
	ds_read_b128 v[6:9], v28 offset:5408
	ds_read_b128 v[10:13], v28 offset:8112
	v_lshlrev_b64 v[2:3], 4, v[4:5]
	v_add_nc_u32_e32 v4, 0x2a4, v66
	v_add_co_u32 v22, vcc_lo, v0, v16
	v_add_co_ci_u32_e32 v23, vcc_lo, v1, v17, vcc_lo
	ds_read_b128 v[14:17], v28 offset:10816
	ds_read_b128 v[18:21], v28 offset:13520
	v_lshlrev_b64 v[24:25], 4, v[4:5]
	v_add_nc_u32_e32 v4, 0x34d, v66
	v_add_co_u32 v2, vcc_lo, v0, v2
	v_add_co_ci_u32_e32 v3, vcc_lo, v1, v3, vcc_lo
	v_lshlrev_b64 v[26:27], 4, v[4:5]
	v_add_nc_u32_e32 v4, 0x3f6, v66
	v_add_co_u32 v24, vcc_lo, v0, v24
	s_waitcnt lgkmcnt(3)
	global_store_dwordx4 v[22:23], v[6:9], off
	v_add_co_ci_u32_e32 v25, vcc_lo, v1, v25, vcc_lo
	v_lshlrev_b64 v[6:7], 4, v[4:5]
	v_add_nc_u32_e32 v4, 0x49f, v66
	v_add_co_u32 v26, vcc_lo, v0, v26
	v_add_co_ci_u32_e32 v27, vcc_lo, v1, v27, vcc_lo
	v_lshlrev_b64 v[22:23], 4, v[4:5]
	v_add_nc_u32_e32 v4, 0x548, v66
	s_waitcnt lgkmcnt(2)
	global_store_dwordx4 v[2:3], v[10:13], off
	s_waitcnt lgkmcnt(1)
	global_store_dwordx4 v[24:25], v[14:17], off
	;; [unrolled: 2-line block ×3, first 2 shown]
	v_add_co_u32 v2, vcc_lo, v0, v6
	v_add_co_ci_u32_e32 v3, vcc_lo, v1, v7, vcc_lo
	ds_read_b128 v[6:9], v28 offset:16224
	ds_read_b128 v[10:13], v28 offset:18928
	ds_read_b128 v[14:17], v28 offset:21632
	ds_read_b128 v[18:21], v28 offset:24336
	v_lshlrev_b64 v[24:25], 4, v[4:5]
	v_add_nc_u32_e32 v4, 0x5f1, v66
	v_add_co_u32 v22, vcc_lo, v0, v22
	v_add_co_ci_u32_e32 v23, vcc_lo, v1, v23, vcc_lo
	v_lshlrev_b64 v[4:5], 4, v[4:5]
	v_add_co_u32 v24, vcc_lo, v0, v24
	v_add_co_ci_u32_e32 v25, vcc_lo, v1, v25, vcc_lo
	v_add_co_u32 v4, vcc_lo, v0, v4
	v_add_co_ci_u32_e32 v5, vcc_lo, v1, v5, vcc_lo
	v_cmp_eq_u32_e32 vcc_lo, 0xa8, v66
	s_waitcnt lgkmcnt(3)
	global_store_dwordx4 v[2:3], v[6:9], off
	s_waitcnt lgkmcnt(2)
	global_store_dwordx4 v[22:23], v[10:13], off
	;; [unrolled: 2-line block ×4, first 2 shown]
	s_and_b32 exec_lo, exec_lo, vcc_lo
	s_cbranch_execz .LBB0_26
; %bb.25:
	v_mov_b32_e32 v2, 0
	v_add_co_u32 v0, vcc_lo, 0x6800, v0
	v_add_co_ci_u32_e32 v1, vcc_lo, 0, v1, vcc_lo
	ds_read_b128 v[2:5], v2 offset:27040
	s_waitcnt lgkmcnt(0)
	global_store_dwordx4 v[0:1], v[2:5], off offset:416
.LBB0_26:
	s_endpgm
	.section	.rodata,"a",@progbits
	.p2align	6, 0x0
	.amdhsa_kernel fft_rtc_fwd_len1690_factors_13_10_13_wgs_169_tpt_169_dp_op_CI_CI_unitstride_sbrr_R2C_dirReg
		.amdhsa_group_segment_fixed_size 0
		.amdhsa_private_segment_fixed_size 0
		.amdhsa_kernarg_size 104
		.amdhsa_user_sgpr_count 6
		.amdhsa_user_sgpr_private_segment_buffer 1
		.amdhsa_user_sgpr_dispatch_ptr 0
		.amdhsa_user_sgpr_queue_ptr 0
		.amdhsa_user_sgpr_kernarg_segment_ptr 1
		.amdhsa_user_sgpr_dispatch_id 0
		.amdhsa_user_sgpr_flat_scratch_init 0
		.amdhsa_user_sgpr_private_segment_size 0
		.amdhsa_wavefront_size32 1
		.amdhsa_uses_dynamic_stack 0
		.amdhsa_system_sgpr_private_segment_wavefront_offset 0
		.amdhsa_system_sgpr_workgroup_id_x 1
		.amdhsa_system_sgpr_workgroup_id_y 0
		.amdhsa_system_sgpr_workgroup_id_z 0
		.amdhsa_system_sgpr_workgroup_info 0
		.amdhsa_system_vgpr_workitem_id 0
		.amdhsa_next_free_vgpr 255
		.amdhsa_next_free_sgpr 46
		.amdhsa_reserve_vcc 1
		.amdhsa_reserve_flat_scratch 0
		.amdhsa_float_round_mode_32 0
		.amdhsa_float_round_mode_16_64 0
		.amdhsa_float_denorm_mode_32 3
		.amdhsa_float_denorm_mode_16_64 3
		.amdhsa_dx10_clamp 1
		.amdhsa_ieee_mode 1
		.amdhsa_fp16_overflow 0
		.amdhsa_workgroup_processor_mode 1
		.amdhsa_memory_ordered 1
		.amdhsa_forward_progress 0
		.amdhsa_shared_vgpr_count 0
		.amdhsa_exception_fp_ieee_invalid_op 0
		.amdhsa_exception_fp_denorm_src 0
		.amdhsa_exception_fp_ieee_div_zero 0
		.amdhsa_exception_fp_ieee_overflow 0
		.amdhsa_exception_fp_ieee_underflow 0
		.amdhsa_exception_fp_ieee_inexact 0
		.amdhsa_exception_int_div_zero 0
	.end_amdhsa_kernel
	.text
.Lfunc_end0:
	.size	fft_rtc_fwd_len1690_factors_13_10_13_wgs_169_tpt_169_dp_op_CI_CI_unitstride_sbrr_R2C_dirReg, .Lfunc_end0-fft_rtc_fwd_len1690_factors_13_10_13_wgs_169_tpt_169_dp_op_CI_CI_unitstride_sbrr_R2C_dirReg
                                        ; -- End function
	.section	.AMDGPU.csdata,"",@progbits
; Kernel info:
; codeLenInByte = 14048
; NumSgprs: 48
; NumVgprs: 255
; ScratchSize: 0
; MemoryBound: 0
; FloatMode: 240
; IeeeMode: 1
; LDSByteSize: 0 bytes/workgroup (compile time only)
; SGPRBlocks: 5
; VGPRBlocks: 31
; NumSGPRsForWavesPerEU: 48
; NumVGPRsForWavesPerEU: 255
; Occupancy: 4
; WaveLimiterHint : 1
; COMPUTE_PGM_RSRC2:SCRATCH_EN: 0
; COMPUTE_PGM_RSRC2:USER_SGPR: 6
; COMPUTE_PGM_RSRC2:TRAP_HANDLER: 0
; COMPUTE_PGM_RSRC2:TGID_X_EN: 1
; COMPUTE_PGM_RSRC2:TGID_Y_EN: 0
; COMPUTE_PGM_RSRC2:TGID_Z_EN: 0
; COMPUTE_PGM_RSRC2:TIDIG_COMP_CNT: 0
	.text
	.p2alignl 6, 3214868480
	.fill 48, 4, 3214868480
	.type	__hip_cuid_ceb20283ede10d29,@object ; @__hip_cuid_ceb20283ede10d29
	.section	.bss,"aw",@nobits
	.globl	__hip_cuid_ceb20283ede10d29
__hip_cuid_ceb20283ede10d29:
	.byte	0                               ; 0x0
	.size	__hip_cuid_ceb20283ede10d29, 1

	.ident	"AMD clang version 19.0.0git (https://github.com/RadeonOpenCompute/llvm-project roc-6.4.0 25133 c7fe45cf4b819c5991fe208aaa96edf142730f1d)"
	.section	".note.GNU-stack","",@progbits
	.addrsig
	.addrsig_sym __hip_cuid_ceb20283ede10d29
	.amdgpu_metadata
---
amdhsa.kernels:
  - .args:
      - .actual_access:  read_only
        .address_space:  global
        .offset:         0
        .size:           8
        .value_kind:     global_buffer
      - .offset:         8
        .size:           8
        .value_kind:     by_value
      - .actual_access:  read_only
        .address_space:  global
        .offset:         16
        .size:           8
        .value_kind:     global_buffer
      - .actual_access:  read_only
        .address_space:  global
        .offset:         24
        .size:           8
        .value_kind:     global_buffer
      - .actual_access:  read_only
        .address_space:  global
        .offset:         32
        .size:           8
        .value_kind:     global_buffer
      - .offset:         40
        .size:           8
        .value_kind:     by_value
      - .actual_access:  read_only
        .address_space:  global
        .offset:         48
        .size:           8
        .value_kind:     global_buffer
      - .actual_access:  read_only
        .address_space:  global
        .offset:         56
        .size:           8
        .value_kind:     global_buffer
      - .offset:         64
        .size:           4
        .value_kind:     by_value
      - .actual_access:  read_only
        .address_space:  global
        .offset:         72
        .size:           8
        .value_kind:     global_buffer
      - .actual_access:  read_only
        .address_space:  global
        .offset:         80
        .size:           8
        .value_kind:     global_buffer
      - .actual_access:  read_only
        .address_space:  global
        .offset:         88
        .size:           8
        .value_kind:     global_buffer
      - .actual_access:  write_only
        .address_space:  global
        .offset:         96
        .size:           8
        .value_kind:     global_buffer
    .group_segment_fixed_size: 0
    .kernarg_segment_align: 8
    .kernarg_segment_size: 104
    .language:       OpenCL C
    .language_version:
      - 2
      - 0
    .max_flat_workgroup_size: 169
    .name:           fft_rtc_fwd_len1690_factors_13_10_13_wgs_169_tpt_169_dp_op_CI_CI_unitstride_sbrr_R2C_dirReg
    .private_segment_fixed_size: 0
    .sgpr_count:     48
    .sgpr_spill_count: 0
    .symbol:         fft_rtc_fwd_len1690_factors_13_10_13_wgs_169_tpt_169_dp_op_CI_CI_unitstride_sbrr_R2C_dirReg.kd
    .uniform_work_group_size: 1
    .uses_dynamic_stack: false
    .vgpr_count:     255
    .vgpr_spill_count: 0
    .wavefront_size: 32
    .workgroup_processor_mode: 1
amdhsa.target:   amdgcn-amd-amdhsa--gfx1030
amdhsa.version:
  - 1
  - 2
...

	.end_amdgpu_metadata
